;; amdgpu-corpus repo=zjin-lcf/HeCBench kind=compiled arch=gfx90a opt=O3
	.text
	.amdgcn_target "amdgcn-amd-amdhsa--gfx90a"
	.amdhsa_code_object_version 6
	.p2align	2                               ; -- Begin function __ockl_fprintf_append_string_n
	.type	__ockl_fprintf_append_string_n,@function
__ockl_fprintf_append_string_n:         ; @__ockl_fprintf_append_string_n
; %bb.0:
	s_waitcnt vmcnt(0) expcnt(0) lgkmcnt(0)
	v_mov_b32_e32 v9, v3
	v_mov_b32_e32 v8, v2
	v_or_b32_e32 v2, 2, v0
	v_cmp_eq_u32_e32 vcc, 0, v6
	s_mov_b32 s22, 0
	v_cndmask_b32_e32 v0, v2, v0, vcc
	s_mov_b64 s[6:7], 0
	v_cmp_ne_u64_e32 vcc, 0, v[8:9]
	v_mbcnt_lo_u32_b32 v2, -1, 0
	s_and_saveexec_b64 s[4:5], vcc
	s_xor_b64 s[10:11], exec, s[4:5]
	s_cbranch_execz .LBB0_86
; %bb.1:
	s_load_dwordx2 s[12:13], s[8:9], 0x50
	v_and_b32_e32 v6, 2, v0
	v_mov_b32_e32 v31, 0
	v_and_b32_e32 v0, -3, v0
	v_mbcnt_hi_u32_b32 v32, -1, v2
	s_movk_i32 s23, 0xff1f
	v_mov_b32_e32 v12, 2
	v_mov_b32_e32 v13, 1
	s_branch .LBB0_3
.LBB0_2:                                ;   in Loop: Header=BB0_3 Depth=1
	s_or_b64 exec, exec, s[16:17]
	v_sub_co_u32_e32 v4, vcc, v4, v34
	v_subb_co_u32_e32 v5, vcc, v5, v35, vcc
	v_cmp_eq_u64_e32 vcc, 0, v[4:5]
	s_or_b64 s[6:7], vcc, s[6:7]
	v_add_co_u32_e32 v8, vcc, v8, v34
	v_addc_co_u32_e32 v9, vcc, v9, v35, vcc
	s_andn2_b64 exec, exec, s[6:7]
	s_cbranch_execz .LBB0_85
.LBB0_3:                                ; =>This Loop Header: Depth=1
                                        ;     Child Loop BB0_6 Depth 2
                                        ;     Child Loop BB0_14 Depth 2
	;; [unrolled: 1-line block ×11, first 2 shown]
	v_cmp_gt_u64_e32 vcc, 56, v[4:5]
	v_cndmask_b32_e32 v35, 0, v5, vcc
	v_cndmask_b32_e32 v34, 56, v4, vcc
	v_cmp_gt_u64_e32 vcc, 8, v[4:5]
                                        ; implicit-def: $vgpr2_vgpr3
                                        ; implicit-def: $sgpr14
	s_and_saveexec_b64 s[4:5], vcc
	s_xor_b64 s[4:5], exec, s[4:5]
	s_cbranch_execz .LBB0_9
; %bb.4:                                ;   in Loop: Header=BB0_3 Depth=1
	s_mov_b64 s[16:17], 0
	v_cmp_ne_u64_e32 vcc, 0, v[4:5]
	s_waitcnt vmcnt(0)
	v_pk_mov_b32 v[2:3], 0, 0
	s_and_saveexec_b64 s[14:15], vcc
	s_cbranch_execz .LBB0_8
; %bb.5:                                ;   in Loop: Header=BB0_3 Depth=1
	v_lshlrev_b64 v[10:11], 3, v[34:35]
	v_pk_mov_b32 v[2:3], 0, 0
	v_pk_mov_b32 v[14:15], v[8:9], v[8:9] op_sel:[0,1]
	s_mov_b64 s[18:19], 0
.LBB0_6:                                ;   Parent Loop BB0_3 Depth=1
                                        ; =>  This Inner Loop Header: Depth=2
	flat_load_ubyte v7, v[14:15]
	v_mov_b32_e32 v17, s22
	v_add_co_u32_e32 v14, vcc, 1, v14
	v_addc_co_u32_e32 v15, vcc, 0, v15, vcc
	s_waitcnt vmcnt(0) lgkmcnt(0)
	v_and_b32_e32 v16, 0xffff, v7
	v_lshlrev_b64 v[16:17], s18, v[16:17]
	s_add_u32 s18, s18, 8
	s_addc_u32 s19, s19, 0
	v_cmp_eq_u32_e32 vcc, s18, v10
	v_or_b32_e32 v3, v17, v3
	s_or_b64 s[16:17], vcc, s[16:17]
	v_or_b32_e32 v2, v16, v2
	s_andn2_b64 exec, exec, s[16:17]
	s_cbranch_execnz .LBB0_6
; %bb.7:                                ;   in Loop: Header=BB0_3 Depth=1
	s_or_b64 exec, exec, s[16:17]
.LBB0_8:                                ;   in Loop: Header=BB0_3 Depth=1
	s_or_b64 exec, exec, s[14:15]
	s_mov_b32 s14, 0
.LBB0_9:                                ;   in Loop: Header=BB0_3 Depth=1
	s_or_saveexec_b64 s[4:5], s[4:5]
	v_mov_b32_e32 v7, s14
	v_pk_mov_b32 v[10:11], v[8:9], v[8:9] op_sel:[0,1]
	s_xor_b64 exec, exec, s[4:5]
	s_cbranch_execz .LBB0_11
; %bb.10:                               ;   in Loop: Header=BB0_3 Depth=1
	s_waitcnt vmcnt(0)
	flat_load_dwordx2 v[2:3], v[8:9]
	v_add_u32_e32 v7, -8, v34
	s_waitcnt vmcnt(0) lgkmcnt(0)
	v_and_b32_e32 v10, 0xff, v3
	v_and_b32_e32 v11, 0xff00, v3
	;; [unrolled: 1-line block ×4, first 2 shown]
	v_or_b32_e32 v10, v10, v11
	v_or3_b32 v3, v10, v14, v3
	v_add_co_u32_e32 v10, vcc, 8, v8
	v_or3_b32 v2, v2, 0, 0
	v_addc_co_u32_e32 v11, vcc, 0, v9, vcc
.LBB0_11:                               ;   in Loop: Header=BB0_3 Depth=1
	s_or_b64 exec, exec, s[4:5]
	v_cmp_gt_u32_e32 vcc, 8, v7
                                        ; implicit-def: $vgpr14_vgpr15
                                        ; implicit-def: $sgpr14
	s_and_saveexec_b64 s[4:5], vcc
	s_xor_b64 s[4:5], exec, s[4:5]
	s_cbranch_execz .LBB0_17
; %bb.12:                               ;   in Loop: Header=BB0_3 Depth=1
	v_cmp_ne_u32_e32 vcc, 0, v7
	v_pk_mov_b32 v[14:15], 0, 0
	s_and_saveexec_b64 s[14:15], vcc
	s_cbranch_execz .LBB0_16
; %bb.13:                               ;   in Loop: Header=BB0_3 Depth=1
	s_mov_b64 s[16:17], 0
	v_pk_mov_b32 v[14:15], 0, 0
	s_mov_b64 s[18:19], 0
	s_mov_b64 s[20:21], 0
.LBB0_14:                               ;   Parent Loop BB0_3 Depth=1
                                        ; =>  This Inner Loop Header: Depth=2
	v_mov_b32_e32 v17, s21
	v_add_co_u32_e32 v16, vcc, s20, v10
	v_addc_co_u32_e32 v17, vcc, v11, v17, vcc
	flat_load_ubyte v16, v[16:17]
	s_add_u32 s20, s20, 1
	v_mov_b32_e32 v17, s22
	s_addc_u32 s21, s21, 0
	v_cmp_eq_u32_e32 vcc, s20, v7
	s_waitcnt vmcnt(0) lgkmcnt(0)
	v_and_b32_e32 v16, 0xffff, v16
	v_lshlrev_b64 v[16:17], s18, v[16:17]
	s_add_u32 s18, s18, 8
	s_addc_u32 s19, s19, 0
	v_or_b32_e32 v15, v17, v15
	s_or_b64 s[16:17], vcc, s[16:17]
	v_or_b32_e32 v14, v16, v14
	s_andn2_b64 exec, exec, s[16:17]
	s_cbranch_execnz .LBB0_14
; %bb.15:                               ;   in Loop: Header=BB0_3 Depth=1
	s_or_b64 exec, exec, s[16:17]
.LBB0_16:                               ;   in Loop: Header=BB0_3 Depth=1
	s_or_b64 exec, exec, s[14:15]
	s_mov_b32 s14, 0
                                        ; implicit-def: $vgpr7
.LBB0_17:                               ;   in Loop: Header=BB0_3 Depth=1
	s_or_saveexec_b64 s[4:5], s[4:5]
	v_mov_b32_e32 v18, s14
	s_xor_b64 exec, exec, s[4:5]
	s_cbranch_execz .LBB0_19
; %bb.18:                               ;   in Loop: Header=BB0_3 Depth=1
	flat_load_dwordx2 v[14:15], v[10:11]
	v_add_u32_e32 v18, -8, v7
	v_add_co_u32_e32 v10, vcc, 8, v10
	v_addc_co_u32_e32 v11, vcc, 0, v11, vcc
	s_waitcnt vmcnt(0) lgkmcnt(0)
	v_and_b32_e32 v7, 0xff, v15
	v_and_b32_e32 v16, 0xff00, v15
	;; [unrolled: 1-line block ×4, first 2 shown]
	v_or_b32_e32 v7, v7, v16
	v_or3_b32 v14, v14, 0, 0
	v_or3_b32 v15, v7, v17, v15
.LBB0_19:                               ;   in Loop: Header=BB0_3 Depth=1
	s_or_b64 exec, exec, s[4:5]
	v_cmp_gt_u32_e32 vcc, 8, v18
                                        ; implicit-def: $sgpr14
	s_and_saveexec_b64 s[4:5], vcc
	s_xor_b64 s[4:5], exec, s[4:5]
	s_cbranch_execz .LBB0_25
; %bb.20:                               ;   in Loop: Header=BB0_3 Depth=1
	v_cmp_ne_u32_e32 vcc, 0, v18
	v_pk_mov_b32 v[16:17], 0, 0
	s_and_saveexec_b64 s[14:15], vcc
	s_cbranch_execz .LBB0_24
; %bb.21:                               ;   in Loop: Header=BB0_3 Depth=1
	s_mov_b64 s[16:17], 0
	v_pk_mov_b32 v[16:17], 0, 0
	s_mov_b64 s[18:19], 0
	s_mov_b64 s[20:21], 0
.LBB0_22:                               ;   Parent Loop BB0_3 Depth=1
                                        ; =>  This Inner Loop Header: Depth=2
	v_mov_b32_e32 v7, s21
	v_add_co_u32_e32 v20, vcc, s20, v10
	v_addc_co_u32_e32 v21, vcc, v11, v7, vcc
	flat_load_ubyte v7, v[20:21]
	s_add_u32 s20, s20, 1
	v_mov_b32_e32 v21, s22
	s_addc_u32 s21, s21, 0
	v_cmp_eq_u32_e32 vcc, s20, v18
	s_waitcnt vmcnt(0) lgkmcnt(0)
	v_and_b32_e32 v20, 0xffff, v7
	v_lshlrev_b64 v[20:21], s18, v[20:21]
	s_add_u32 s18, s18, 8
	s_addc_u32 s19, s19, 0
	v_or_b32_e32 v17, v21, v17
	s_or_b64 s[16:17], vcc, s[16:17]
	v_or_b32_e32 v16, v20, v16
	s_andn2_b64 exec, exec, s[16:17]
	s_cbranch_execnz .LBB0_22
; %bb.23:                               ;   in Loop: Header=BB0_3 Depth=1
	s_or_b64 exec, exec, s[16:17]
.LBB0_24:                               ;   in Loop: Header=BB0_3 Depth=1
	s_or_b64 exec, exec, s[14:15]
	s_mov_b32 s14, 0
                                        ; implicit-def: $vgpr18
.LBB0_25:                               ;   in Loop: Header=BB0_3 Depth=1
	s_or_saveexec_b64 s[4:5], s[4:5]
	v_mov_b32_e32 v7, s14
	s_xor_b64 exec, exec, s[4:5]
	s_cbranch_execz .LBB0_27
; %bb.26:                               ;   in Loop: Header=BB0_3 Depth=1
	flat_load_dwordx2 v[16:17], v[10:11]
	v_add_u32_e32 v7, -8, v18
	v_add_co_u32_e32 v10, vcc, 8, v10
	v_addc_co_u32_e32 v11, vcc, 0, v11, vcc
	s_waitcnt vmcnt(0) lgkmcnt(0)
	v_and_b32_e32 v18, 0xff, v17
	v_and_b32_e32 v19, 0xff00, v17
	;; [unrolled: 1-line block ×4, first 2 shown]
	v_or_b32_e32 v18, v18, v19
	v_or3_b32 v16, v16, 0, 0
	v_or3_b32 v17, v18, v20, v17
.LBB0_27:                               ;   in Loop: Header=BB0_3 Depth=1
	s_or_b64 exec, exec, s[4:5]
	v_cmp_gt_u32_e32 vcc, 8, v7
                                        ; implicit-def: $vgpr18_vgpr19
                                        ; implicit-def: $sgpr14
	s_and_saveexec_b64 s[4:5], vcc
	s_xor_b64 s[4:5], exec, s[4:5]
	s_cbranch_execz .LBB0_33
; %bb.28:                               ;   in Loop: Header=BB0_3 Depth=1
	v_cmp_ne_u32_e32 vcc, 0, v7
	v_pk_mov_b32 v[18:19], 0, 0
	s_and_saveexec_b64 s[14:15], vcc
	s_cbranch_execz .LBB0_32
; %bb.29:                               ;   in Loop: Header=BB0_3 Depth=1
	s_mov_b64 s[16:17], 0
	v_pk_mov_b32 v[18:19], 0, 0
	s_mov_b64 s[18:19], 0
	s_mov_b64 s[20:21], 0
.LBB0_30:                               ;   Parent Loop BB0_3 Depth=1
                                        ; =>  This Inner Loop Header: Depth=2
	v_mov_b32_e32 v21, s21
	v_add_co_u32_e32 v20, vcc, s20, v10
	v_addc_co_u32_e32 v21, vcc, v11, v21, vcc
	flat_load_ubyte v20, v[20:21]
	s_add_u32 s20, s20, 1
	v_mov_b32_e32 v21, s22
	s_addc_u32 s21, s21, 0
	v_cmp_eq_u32_e32 vcc, s20, v7
	s_waitcnt vmcnt(0) lgkmcnt(0)
	v_and_b32_e32 v20, 0xffff, v20
	v_lshlrev_b64 v[20:21], s18, v[20:21]
	s_add_u32 s18, s18, 8
	s_addc_u32 s19, s19, 0
	v_or_b32_e32 v19, v21, v19
	s_or_b64 s[16:17], vcc, s[16:17]
	v_or_b32_e32 v18, v20, v18
	s_andn2_b64 exec, exec, s[16:17]
	s_cbranch_execnz .LBB0_30
; %bb.31:                               ;   in Loop: Header=BB0_3 Depth=1
	s_or_b64 exec, exec, s[16:17]
.LBB0_32:                               ;   in Loop: Header=BB0_3 Depth=1
	s_or_b64 exec, exec, s[14:15]
	s_mov_b32 s14, 0
                                        ; implicit-def: $vgpr7
.LBB0_33:                               ;   in Loop: Header=BB0_3 Depth=1
	s_or_saveexec_b64 s[4:5], s[4:5]
	v_mov_b32_e32 v22, s14
	s_xor_b64 exec, exec, s[4:5]
	s_cbranch_execz .LBB0_35
; %bb.34:                               ;   in Loop: Header=BB0_3 Depth=1
	flat_load_dwordx2 v[18:19], v[10:11]
	v_add_u32_e32 v22, -8, v7
	v_add_co_u32_e32 v10, vcc, 8, v10
	v_addc_co_u32_e32 v11, vcc, 0, v11, vcc
	s_waitcnt vmcnt(0) lgkmcnt(0)
	v_and_b32_e32 v7, 0xff, v19
	v_and_b32_e32 v20, 0xff00, v19
	;; [unrolled: 1-line block ×4, first 2 shown]
	v_or_b32_e32 v7, v7, v20
	v_or3_b32 v18, v18, 0, 0
	v_or3_b32 v19, v7, v21, v19
.LBB0_35:                               ;   in Loop: Header=BB0_3 Depth=1
	s_or_b64 exec, exec, s[4:5]
	v_cmp_gt_u32_e32 vcc, 8, v22
                                        ; implicit-def: $sgpr14
	s_and_saveexec_b64 s[4:5], vcc
	s_xor_b64 s[4:5], exec, s[4:5]
	s_cbranch_execz .LBB0_41
; %bb.36:                               ;   in Loop: Header=BB0_3 Depth=1
	v_cmp_ne_u32_e32 vcc, 0, v22
	v_pk_mov_b32 v[20:21], 0, 0
	s_and_saveexec_b64 s[14:15], vcc
	s_cbranch_execz .LBB0_40
; %bb.37:                               ;   in Loop: Header=BB0_3 Depth=1
	s_mov_b64 s[16:17], 0
	v_pk_mov_b32 v[20:21], 0, 0
	s_mov_b64 s[18:19], 0
	s_mov_b64 s[20:21], 0
.LBB0_38:                               ;   Parent Loop BB0_3 Depth=1
                                        ; =>  This Inner Loop Header: Depth=2
	v_mov_b32_e32 v7, s21
	v_add_co_u32_e32 v24, vcc, s20, v10
	v_addc_co_u32_e32 v25, vcc, v11, v7, vcc
	flat_load_ubyte v7, v[24:25]
	s_add_u32 s20, s20, 1
	v_mov_b32_e32 v25, s22
	s_addc_u32 s21, s21, 0
	v_cmp_eq_u32_e32 vcc, s20, v22
	s_waitcnt vmcnt(0) lgkmcnt(0)
	v_and_b32_e32 v24, 0xffff, v7
	v_lshlrev_b64 v[24:25], s18, v[24:25]
	s_add_u32 s18, s18, 8
	s_addc_u32 s19, s19, 0
	v_or_b32_e32 v21, v25, v21
	s_or_b64 s[16:17], vcc, s[16:17]
	v_or_b32_e32 v20, v24, v20
	s_andn2_b64 exec, exec, s[16:17]
	s_cbranch_execnz .LBB0_38
; %bb.39:                               ;   in Loop: Header=BB0_3 Depth=1
	s_or_b64 exec, exec, s[16:17]
.LBB0_40:                               ;   in Loop: Header=BB0_3 Depth=1
	s_or_b64 exec, exec, s[14:15]
	s_mov_b32 s14, 0
                                        ; implicit-def: $vgpr22
.LBB0_41:                               ;   in Loop: Header=BB0_3 Depth=1
	s_or_saveexec_b64 s[4:5], s[4:5]
	v_mov_b32_e32 v7, s14
	s_xor_b64 exec, exec, s[4:5]
	s_cbranch_execz .LBB0_43
; %bb.42:                               ;   in Loop: Header=BB0_3 Depth=1
	flat_load_dwordx2 v[20:21], v[10:11]
	v_add_u32_e32 v7, -8, v22
	v_add_co_u32_e32 v10, vcc, 8, v10
	v_addc_co_u32_e32 v11, vcc, 0, v11, vcc
	s_waitcnt vmcnt(0) lgkmcnt(0)
	v_and_b32_e32 v22, 0xff, v21
	v_and_b32_e32 v23, 0xff00, v21
	;; [unrolled: 1-line block ×4, first 2 shown]
	v_or_b32_e32 v22, v22, v23
	v_or3_b32 v20, v20, 0, 0
	v_or3_b32 v21, v22, v24, v21
.LBB0_43:                               ;   in Loop: Header=BB0_3 Depth=1
	s_or_b64 exec, exec, s[4:5]
	v_cmp_gt_u32_e32 vcc, 8, v7
                                        ; implicit-def: $vgpr22_vgpr23
                                        ; implicit-def: $sgpr14
	s_and_saveexec_b64 s[4:5], vcc
	s_xor_b64 s[4:5], exec, s[4:5]
	s_cbranch_execz .LBB0_49
; %bb.44:                               ;   in Loop: Header=BB0_3 Depth=1
	v_cmp_ne_u32_e32 vcc, 0, v7
	v_pk_mov_b32 v[22:23], 0, 0
	s_and_saveexec_b64 s[14:15], vcc
	s_cbranch_execz .LBB0_48
; %bb.45:                               ;   in Loop: Header=BB0_3 Depth=1
	s_mov_b64 s[16:17], 0
	v_pk_mov_b32 v[22:23], 0, 0
	s_mov_b64 s[18:19], 0
	s_mov_b64 s[20:21], 0
.LBB0_46:                               ;   Parent Loop BB0_3 Depth=1
                                        ; =>  This Inner Loop Header: Depth=2
	v_mov_b32_e32 v25, s21
	v_add_co_u32_e32 v24, vcc, s20, v10
	v_addc_co_u32_e32 v25, vcc, v11, v25, vcc
	flat_load_ubyte v24, v[24:25]
	s_add_u32 s20, s20, 1
	v_mov_b32_e32 v25, s22
	s_addc_u32 s21, s21, 0
	v_cmp_eq_u32_e32 vcc, s20, v7
	s_waitcnt vmcnt(0) lgkmcnt(0)
	v_and_b32_e32 v24, 0xffff, v24
	v_lshlrev_b64 v[24:25], s18, v[24:25]
	s_add_u32 s18, s18, 8
	s_addc_u32 s19, s19, 0
	v_or_b32_e32 v23, v25, v23
	s_or_b64 s[16:17], vcc, s[16:17]
	v_or_b32_e32 v22, v24, v22
	s_andn2_b64 exec, exec, s[16:17]
	s_cbranch_execnz .LBB0_46
; %bb.47:                               ;   in Loop: Header=BB0_3 Depth=1
	s_or_b64 exec, exec, s[16:17]
.LBB0_48:                               ;   in Loop: Header=BB0_3 Depth=1
	s_or_b64 exec, exec, s[14:15]
	s_mov_b32 s14, 0
                                        ; implicit-def: $vgpr7
.LBB0_49:                               ;   in Loop: Header=BB0_3 Depth=1
	s_or_saveexec_b64 s[4:5], s[4:5]
	v_mov_b32_e32 v26, s14
	s_xor_b64 exec, exec, s[4:5]
	s_cbranch_execz .LBB0_51
; %bb.50:                               ;   in Loop: Header=BB0_3 Depth=1
	flat_load_dwordx2 v[22:23], v[10:11]
	v_add_u32_e32 v26, -8, v7
	v_add_co_u32_e32 v10, vcc, 8, v10
	v_addc_co_u32_e32 v11, vcc, 0, v11, vcc
	s_waitcnt vmcnt(0) lgkmcnt(0)
	v_and_b32_e32 v7, 0xff, v23
	v_and_b32_e32 v24, 0xff00, v23
	v_and_b32_e32 v25, 0xff0000, v23
	v_and_b32_e32 v23, 0xff000000, v23
	v_or_b32_e32 v7, v7, v24
	v_or3_b32 v22, v22, 0, 0
	v_or3_b32 v23, v7, v25, v23
.LBB0_51:                               ;   in Loop: Header=BB0_3 Depth=1
	s_or_b64 exec, exec, s[4:5]
	v_cmp_gt_u32_e32 vcc, 8, v26
	s_and_saveexec_b64 s[4:5], vcc
	s_xor_b64 s[4:5], exec, s[4:5]
	s_cbranch_execz .LBB0_57
; %bb.52:                               ;   in Loop: Header=BB0_3 Depth=1
	v_cmp_ne_u32_e32 vcc, 0, v26
	v_pk_mov_b32 v[24:25], 0, 0
	s_and_saveexec_b64 s[14:15], vcc
	s_cbranch_execz .LBB0_56
; %bb.53:                               ;   in Loop: Header=BB0_3 Depth=1
	s_mov_b64 s[16:17], 0
	v_pk_mov_b32 v[24:25], 0, 0
	s_mov_b64 s[18:19], 0
.LBB0_54:                               ;   Parent Loop BB0_3 Depth=1
                                        ; =>  This Inner Loop Header: Depth=2
	flat_load_ubyte v7, v[10:11]
	v_mov_b32_e32 v29, s22
	v_add_co_u32_e32 v10, vcc, 1, v10
	v_add_u32_e32 v26, -1, v26
	v_addc_co_u32_e32 v11, vcc, 0, v11, vcc
	v_cmp_eq_u32_e32 vcc, 0, v26
	s_waitcnt vmcnt(0) lgkmcnt(0)
	v_and_b32_e32 v28, 0xffff, v7
	v_lshlrev_b64 v[28:29], s18, v[28:29]
	s_add_u32 s18, s18, 8
	s_addc_u32 s19, s19, 0
	v_or_b32_e32 v25, v29, v25
	s_or_b64 s[16:17], vcc, s[16:17]
	v_or_b32_e32 v24, v28, v24
	s_andn2_b64 exec, exec, s[16:17]
	s_cbranch_execnz .LBB0_54
; %bb.55:                               ;   in Loop: Header=BB0_3 Depth=1
	s_or_b64 exec, exec, s[16:17]
.LBB0_56:                               ;   in Loop: Header=BB0_3 Depth=1
	s_or_b64 exec, exec, s[14:15]
                                        ; implicit-def: $vgpr10_vgpr11
.LBB0_57:                               ;   in Loop: Header=BB0_3 Depth=1
	s_andn2_saveexec_b64 s[4:5], s[4:5]
	s_cbranch_execz .LBB0_59
; %bb.58:                               ;   in Loop: Header=BB0_3 Depth=1
	flat_load_dwordx2 v[10:11], v[10:11]
	s_waitcnt vmcnt(0) lgkmcnt(0)
	v_and_b32_e32 v7, 0xff, v11
	v_and_b32_e32 v24, 0xff00, v11
	;; [unrolled: 1-line block ×4, first 2 shown]
	v_or_b32_e32 v7, v7, v24
	v_or3_b32 v25, v7, v25, v11
	v_or3_b32 v24, v10, 0, 0
.LBB0_59:                               ;   in Loop: Header=BB0_3 Depth=1
	s_or_b64 exec, exec, s[4:5]
	v_readfirstlane_b32 s4, v32
	v_cmp_eq_u32_e64 s[4:5], s4, v32
	v_pk_mov_b32 v[10:11], 0, 0
	s_and_saveexec_b64 s[14:15], s[4:5]
	s_cbranch_execz .LBB0_65
; %bb.60:                               ;   in Loop: Header=BB0_3 Depth=1
	s_waitcnt lgkmcnt(0)
	global_load_dwordx2 v[28:29], v31, s[12:13] offset:24 glc
	s_waitcnt vmcnt(0)
	buffer_invl2
	buffer_wbinvl1_vol
	global_load_dwordx2 v[10:11], v31, s[12:13] offset:40
	global_load_dwordx2 v[26:27], v31, s[12:13]
	s_waitcnt vmcnt(1)
	v_and_b32_e32 v7, v10, v28
	v_and_b32_e32 v10, v11, v29
	v_mul_lo_u32 v10, v10, 24
	v_mul_hi_u32 v11, v7, 24
	v_mul_lo_u32 v7, v7, 24
	v_add_u32_e32 v11, v11, v10
	s_waitcnt vmcnt(0)
	v_add_co_u32_e32 v10, vcc, v26, v7
	v_addc_co_u32_e32 v11, vcc, v27, v11, vcc
	global_load_dwordx2 v[26:27], v[10:11], off glc
	s_waitcnt vmcnt(0)
	global_atomic_cmpswap_x2 v[10:11], v31, v[26:29], s[12:13] offset:24 glc
	s_waitcnt vmcnt(0)
	buffer_invl2
	buffer_wbinvl1_vol
	v_cmp_ne_u64_e32 vcc, v[10:11], v[28:29]
	s_and_saveexec_b64 s[16:17], vcc
	s_cbranch_execz .LBB0_64
; %bb.61:                               ;   in Loop: Header=BB0_3 Depth=1
	s_mov_b64 s[18:19], 0
.LBB0_62:                               ;   Parent Loop BB0_3 Depth=1
                                        ; =>  This Inner Loop Header: Depth=2
	s_sleep 1
	global_load_dwordx2 v[26:27], v31, s[12:13] offset:40
	global_load_dwordx2 v[36:37], v31, s[12:13]
	v_pk_mov_b32 v[28:29], v[10:11], v[10:11] op_sel:[0,1]
	s_waitcnt vmcnt(1)
	v_and_b32_e32 v10, v26, v28
	s_waitcnt vmcnt(0)
	v_mad_u64_u32 v[10:11], s[20:21], v10, 24, v[36:37]
	v_and_b32_e32 v7, v27, v29
	v_mov_b32_e32 v26, v11
	v_mad_u64_u32 v[26:27], s[20:21], v7, 24, v[26:27]
	v_mov_b32_e32 v11, v26
	global_load_dwordx2 v[26:27], v[10:11], off glc
	s_waitcnt vmcnt(0)
	global_atomic_cmpswap_x2 v[10:11], v31, v[26:29], s[12:13] offset:24 glc
	s_waitcnt vmcnt(0)
	buffer_invl2
	buffer_wbinvl1_vol
	v_cmp_eq_u64_e32 vcc, v[10:11], v[28:29]
	s_or_b64 s[18:19], vcc, s[18:19]
	s_andn2_b64 exec, exec, s[18:19]
	s_cbranch_execnz .LBB0_62
; %bb.63:                               ;   in Loop: Header=BB0_3 Depth=1
	s_or_b64 exec, exec, s[18:19]
.LBB0_64:                               ;   in Loop: Header=BB0_3 Depth=1
	s_or_b64 exec, exec, s[16:17]
.LBB0_65:                               ;   in Loop: Header=BB0_3 Depth=1
	s_or_b64 exec, exec, s[14:15]
	s_waitcnt lgkmcnt(0)
	global_load_dwordx2 v[36:37], v31, s[12:13] offset:40
	global_load_dwordx4 v[26:29], v31, s[12:13]
	v_readfirstlane_b32 s14, v10
	v_readfirstlane_b32 s15, v11
	s_mov_b64 s[16:17], exec
	s_waitcnt vmcnt(1)
	v_readfirstlane_b32 s18, v36
	v_readfirstlane_b32 s19, v37
	s_and_b64 s[18:19], s[14:15], s[18:19]
	s_mul_i32 s20, s19, 24
	s_mul_hi_u32 s21, s18, 24
	s_mul_i32 s24, s18, 24
	s_add_i32 s20, s21, s20
	v_mov_b32_e32 v7, s20
	s_waitcnt vmcnt(0)
	v_add_co_u32_e32 v36, vcc, s24, v26
	v_addc_co_u32_e32 v37, vcc, v27, v7, vcc
	s_and_saveexec_b64 s[20:21], s[4:5]
	s_cbranch_execz .LBB0_67
; %bb.66:                               ;   in Loop: Header=BB0_3 Depth=1
	v_pk_mov_b32 v[10:11], s[16:17], s[16:17] op_sel:[0,1]
	global_store_dwordx4 v[36:37], v[10:13], off offset:8
.LBB0_67:                               ;   in Loop: Header=BB0_3 Depth=1
	s_or_b64 exec, exec, s[20:21]
	s_lshl_b64 s[16:17], s[18:19], 12
	v_mov_b32_e32 v7, s17
	v_add_co_u32_e32 v10, vcc, s16, v28
	v_addc_co_u32_e32 v7, vcc, v29, v7, vcc
	v_or_b32_e32 v11, 0, v1
	v_cmp_lt_u64_e32 vcc, 56, v[4:5]
	v_or_b32_e32 v28, v0, v6
	v_cndmask_b32_e32 v1, v11, v1, vcc
	v_lshl_add_u32 v11, v34, 2, 28
	v_cndmask_b32_e32 v0, v28, v0, vcc
	v_and_b32_e32 v11, 0x1e0, v11
	v_and_or_b32 v0, v0, s23, v11
	v_lshlrev_b32_e32 v11, 6, v32
	v_readfirstlane_b32 s16, v10
	v_readfirstlane_b32 s17, v7
	s_nop 4
	global_store_dwordx4 v11, v[0:3], s[16:17]
	global_store_dwordx4 v11, v[14:17], s[16:17] offset:16
	global_store_dwordx4 v11, v[18:21], s[16:17] offset:32
	;; [unrolled: 1-line block ×3, first 2 shown]
	s_and_saveexec_b64 s[16:17], s[4:5]
	s_cbranch_execz .LBB0_75
; %bb.68:                               ;   in Loop: Header=BB0_3 Depth=1
	global_load_dwordx2 v[18:19], v31, s[12:13] offset:32 glc
	global_load_dwordx2 v[0:1], v31, s[12:13] offset:40
	v_mov_b32_e32 v16, s14
	v_mov_b32_e32 v17, s15
	s_waitcnt vmcnt(0)
	v_readfirstlane_b32 s18, v0
	v_readfirstlane_b32 s19, v1
	s_and_b64 s[18:19], s[18:19], s[14:15]
	s_mul_i32 s19, s19, 24
	s_mul_hi_u32 s20, s18, 24
	s_mul_i32 s18, s18, 24
	s_add_i32 s19, s20, s19
	v_mov_b32_e32 v0, s19
	v_add_co_u32_e32 v14, vcc, s18, v26
	v_addc_co_u32_e32 v15, vcc, v27, v0, vcc
	global_store_dwordx2 v[14:15], v[18:19], off
	buffer_wbl2
	s_waitcnt vmcnt(0)
	global_atomic_cmpswap_x2 v[2:3], v31, v[16:19], s[12:13] offset:32 glc
	s_waitcnt vmcnt(0)
	v_cmp_ne_u64_e32 vcc, v[2:3], v[18:19]
	s_and_saveexec_b64 s[18:19], vcc
	s_cbranch_execz .LBB0_71
; %bb.69:                               ;   in Loop: Header=BB0_3 Depth=1
	s_mov_b64 s[20:21], 0
.LBB0_70:                               ;   Parent Loop BB0_3 Depth=1
                                        ; =>  This Inner Loop Header: Depth=2
	s_sleep 1
	global_store_dwordx2 v[14:15], v[2:3], off
	v_mov_b32_e32 v0, s14
	v_mov_b32_e32 v1, s15
	buffer_wbl2
	s_waitcnt vmcnt(0)
	global_atomic_cmpswap_x2 v[0:1], v31, v[0:3], s[12:13] offset:32 glc
	s_waitcnt vmcnt(0)
	v_cmp_eq_u64_e32 vcc, v[0:1], v[2:3]
	s_or_b64 s[20:21], vcc, s[20:21]
	v_pk_mov_b32 v[2:3], v[0:1], v[0:1] op_sel:[0,1]
	s_andn2_b64 exec, exec, s[20:21]
	s_cbranch_execnz .LBB0_70
.LBB0_71:                               ;   in Loop: Header=BB0_3 Depth=1
	s_or_b64 exec, exec, s[18:19]
	global_load_dwordx2 v[0:1], v31, s[12:13] offset:16
	s_mov_b64 s[20:21], exec
	v_mbcnt_lo_u32_b32 v2, s20, 0
	v_mbcnt_hi_u32_b32 v2, s21, v2
	v_cmp_eq_u32_e32 vcc, 0, v2
	s_and_saveexec_b64 s[18:19], vcc
	s_cbranch_execz .LBB0_73
; %bb.72:                               ;   in Loop: Header=BB0_3 Depth=1
	s_bcnt1_i32_b64 s20, s[20:21]
	v_mov_b32_e32 v30, s20
	buffer_wbl2
	s_waitcnt vmcnt(0)
	global_atomic_add_x2 v[0:1], v[30:31], off offset:8
.LBB0_73:                               ;   in Loop: Header=BB0_3 Depth=1
	s_or_b64 exec, exec, s[18:19]
	s_waitcnt vmcnt(0)
	global_load_dwordx2 v[2:3], v[0:1], off offset:16
	s_waitcnt vmcnt(0)
	v_cmp_eq_u64_e32 vcc, 0, v[2:3]
	s_cbranch_vccnz .LBB0_75
; %bb.74:                               ;   in Loop: Header=BB0_3 Depth=1
	global_load_dword v30, v[0:1], off offset:24
	s_waitcnt vmcnt(0)
	v_and_b32_e32 v0, 0xffffff, v30
	v_readfirstlane_b32 m0, v0
	buffer_wbl2
	global_store_dwordx2 v[2:3], v[30:31], off
	s_sendmsg sendmsg(MSG_INTERRUPT)
.LBB0_75:                               ;   in Loop: Header=BB0_3 Depth=1
	s_or_b64 exec, exec, s[16:17]
	v_add_co_u32_e32 v0, vcc, v10, v11
	v_addc_co_u32_e32 v1, vcc, 0, v7, vcc
	s_branch .LBB0_79
.LBB0_76:                               ;   in Loop: Header=BB0_79 Depth=2
	s_or_b64 exec, exec, s[16:17]
	v_readfirstlane_b32 s16, v2
	s_cmp_eq_u32 s16, 0
	s_cbranch_scc1 .LBB0_78
; %bb.77:                               ;   in Loop: Header=BB0_79 Depth=2
	s_sleep 1
	s_cbranch_execnz .LBB0_79
	s_branch .LBB0_81
.LBB0_78:                               ;   in Loop: Header=BB0_3 Depth=1
	s_branch .LBB0_81
.LBB0_79:                               ;   Parent Loop BB0_3 Depth=1
                                        ; =>  This Inner Loop Header: Depth=2
	v_mov_b32_e32 v2, 1
	s_and_saveexec_b64 s[16:17], s[4:5]
	s_cbranch_execz .LBB0_76
; %bb.80:                               ;   in Loop: Header=BB0_79 Depth=2
	global_load_dword v2, v[36:37], off offset:20 glc
	s_waitcnt vmcnt(0)
	buffer_invl2
	buffer_wbinvl1_vol
	v_and_b32_e32 v2, 1, v2
	s_branch .LBB0_76
.LBB0_81:                               ;   in Loop: Header=BB0_3 Depth=1
	global_load_dwordx4 v[0:3], v[0:1], off
	s_and_saveexec_b64 s[16:17], s[4:5]
	s_cbranch_execz .LBB0_2
; %bb.82:                               ;   in Loop: Header=BB0_3 Depth=1
	global_load_dwordx2 v[2:3], v31, s[12:13] offset:40
	global_load_dwordx2 v[10:11], v31, s[12:13] offset:24 glc
	global_load_dwordx2 v[18:19], v31, s[12:13]
	v_mov_b32_e32 v7, s15
	s_waitcnt vmcnt(2)
	v_add_co_u32_e32 v17, vcc, 1, v2
	v_addc_co_u32_e32 v20, vcc, 0, v3, vcc
	v_add_co_u32_e32 v14, vcc, s14, v17
	v_addc_co_u32_e32 v15, vcc, v20, v7, vcc
	v_cmp_eq_u64_e32 vcc, 0, v[14:15]
	v_cndmask_b32_e32 v15, v15, v20, vcc
	v_cndmask_b32_e32 v14, v14, v17, vcc
	v_and_b32_e32 v3, v15, v3
	v_and_b32_e32 v2, v14, v2
	v_mul_lo_u32 v3, v3, 24
	v_mul_hi_u32 v7, v2, 24
	v_mul_lo_u32 v2, v2, 24
	v_add_u32_e32 v3, v7, v3
	s_waitcnt vmcnt(0)
	v_add_co_u32_e32 v2, vcc, v18, v2
	v_addc_co_u32_e32 v3, vcc, v19, v3, vcc
	v_mov_b32_e32 v16, v10
	global_store_dwordx2 v[2:3], v[10:11], off
	v_mov_b32_e32 v17, v11
	buffer_wbl2
	s_waitcnt vmcnt(0)
	global_atomic_cmpswap_x2 v[16:17], v31, v[14:17], s[12:13] offset:24 glc
	s_waitcnt vmcnt(0)
	v_cmp_ne_u64_e32 vcc, v[16:17], v[10:11]
	s_and_b64 exec, exec, vcc
	s_cbranch_execz .LBB0_2
; %bb.83:                               ;   in Loop: Header=BB0_3 Depth=1
	s_mov_b64 s[4:5], 0
.LBB0_84:                               ;   Parent Loop BB0_3 Depth=1
                                        ; =>  This Inner Loop Header: Depth=2
	s_sleep 1
	global_store_dwordx2 v[2:3], v[16:17], off
	buffer_wbl2
	s_waitcnt vmcnt(0)
	global_atomic_cmpswap_x2 v[10:11], v31, v[14:17], s[12:13] offset:24 glc
	s_waitcnt vmcnt(0)
	v_cmp_eq_u64_e32 vcc, v[10:11], v[16:17]
	s_or_b64 s[4:5], vcc, s[4:5]
	v_pk_mov_b32 v[16:17], v[10:11], v[10:11] op_sel:[0,1]
	s_andn2_b64 exec, exec, s[4:5]
	s_cbranch_execnz .LBB0_84
	s_branch .LBB0_2
.LBB0_85:
	s_or_b64 exec, exec, s[6:7]
                                        ; implicit-def: $vgpr0
                                        ; implicit-def: $vgpr1
                                        ; implicit-def: $vgpr2
.LBB0_86:
	s_andn2_saveexec_b64 s[6:7], s[10:11]
	s_cbranch_execz .LBB0_109
; %bb.87:
	s_load_dwordx2 s[8:9], s[8:9], 0x50
	s_waitcnt vmcnt(0)
	v_mbcnt_hi_u32_b32 v3, -1, v2
	v_readfirstlane_b32 s4, v3
	v_cmp_eq_u32_e64 s[4:5], s4, v3
	v_pk_mov_b32 v[8:9], 0, 0
	s_and_saveexec_b64 s[10:11], s[4:5]
	s_cbranch_execz .LBB0_93
; %bb.88:
	v_mov_b32_e32 v2, 0
	s_waitcnt lgkmcnt(0)
	global_load_dwordx2 v[6:7], v2, s[8:9] offset:24 glc
	s_waitcnt vmcnt(0)
	buffer_invl2
	buffer_wbinvl1_vol
	global_load_dwordx2 v[4:5], v2, s[8:9] offset:40
	global_load_dwordx2 v[8:9], v2, s[8:9]
	s_waitcnt vmcnt(1)
	v_and_b32_e32 v4, v4, v6
	v_and_b32_e32 v5, v5, v7
	v_mul_lo_u32 v5, v5, 24
	v_mul_hi_u32 v10, v4, 24
	v_mul_lo_u32 v4, v4, 24
	v_add_u32_e32 v5, v10, v5
	s_waitcnt vmcnt(0)
	v_add_co_u32_e32 v4, vcc, v8, v4
	v_addc_co_u32_e32 v5, vcc, v9, v5, vcc
	global_load_dwordx2 v[4:5], v[4:5], off glc
	s_waitcnt vmcnt(0)
	global_atomic_cmpswap_x2 v[8:9], v2, v[4:7], s[8:9] offset:24 glc
	s_waitcnt vmcnt(0)
	buffer_invl2
	buffer_wbinvl1_vol
	v_cmp_ne_u64_e32 vcc, v[8:9], v[6:7]
	s_and_saveexec_b64 s[12:13], vcc
	s_cbranch_execz .LBB0_92
; %bb.89:
	s_mov_b64 s[14:15], 0
.LBB0_90:                               ; =>This Inner Loop Header: Depth=1
	s_sleep 1
	global_load_dwordx2 v[4:5], v2, s[8:9] offset:40
	global_load_dwordx2 v[10:11], v2, s[8:9]
	v_pk_mov_b32 v[6:7], v[8:9], v[8:9] op_sel:[0,1]
	s_waitcnt vmcnt(1)
	v_and_b32_e32 v4, v4, v6
	v_and_b32_e32 v9, v5, v7
	s_waitcnt vmcnt(0)
	v_mad_u64_u32 v[4:5], s[16:17], v4, 24, v[10:11]
	v_mov_b32_e32 v8, v5
	v_mad_u64_u32 v[8:9], s[16:17], v9, 24, v[8:9]
	v_mov_b32_e32 v5, v8
	global_load_dwordx2 v[4:5], v[4:5], off glc
	s_waitcnt vmcnt(0)
	global_atomic_cmpswap_x2 v[8:9], v2, v[4:7], s[8:9] offset:24 glc
	s_waitcnt vmcnt(0)
	buffer_invl2
	buffer_wbinvl1_vol
	v_cmp_eq_u64_e32 vcc, v[8:9], v[6:7]
	s_or_b64 s[14:15], vcc, s[14:15]
	s_andn2_b64 exec, exec, s[14:15]
	s_cbranch_execnz .LBB0_90
; %bb.91:
	s_or_b64 exec, exec, s[14:15]
.LBB0_92:
	s_or_b64 exec, exec, s[12:13]
.LBB0_93:
	s_or_b64 exec, exec, s[10:11]
	v_mov_b32_e32 v2, 0
	s_waitcnt lgkmcnt(0)
	global_load_dwordx2 v[10:11], v2, s[8:9] offset:40
	global_load_dwordx4 v[4:7], v2, s[8:9]
	v_readfirstlane_b32 s10, v8
	v_readfirstlane_b32 s11, v9
	s_mov_b64 s[12:13], exec
	s_waitcnt vmcnt(1)
	v_readfirstlane_b32 s14, v10
	v_readfirstlane_b32 s15, v11
	s_and_b64 s[14:15], s[10:11], s[14:15]
	s_mul_i32 s16, s15, 24
	s_mul_hi_u32 s17, s14, 24
	s_mul_i32 s18, s14, 24
	s_add_i32 s16, s17, s16
	v_mov_b32_e32 v9, s16
	s_waitcnt vmcnt(0)
	v_add_co_u32_e32 v8, vcc, s18, v4
	v_addc_co_u32_e32 v9, vcc, v5, v9, vcc
	s_and_saveexec_b64 s[16:17], s[4:5]
	s_cbranch_execz .LBB0_95
; %bb.94:
	v_pk_mov_b32 v[10:11], s[12:13], s[12:13] op_sel:[0,1]
	v_mov_b32_e32 v12, 2
	v_mov_b32_e32 v13, 1
	global_store_dwordx4 v[8:9], v[10:13], off offset:8
.LBB0_95:
	s_or_b64 exec, exec, s[16:17]
	s_lshl_b64 s[12:13], s[14:15], 12
	v_mov_b32_e32 v10, s13
	v_add_co_u32_e32 v6, vcc, s12, v6
	s_movk_i32 s12, 0xff1f
	v_addc_co_u32_e32 v7, vcc, v7, v10, vcc
	v_and_or_b32 v0, v0, s12, 32
	s_mov_b32 s12, 0
	v_lshlrev_b32_e32 v10, 6, v3
	v_mov_b32_e32 v3, v2
	v_readfirstlane_b32 s16, v6
	v_readfirstlane_b32 s17, v7
	s_mov_b32 s13, s12
	s_mov_b32 s14, s12
	;; [unrolled: 1-line block ×3, first 2 shown]
	s_nop 1
	global_store_dwordx4 v10, v[0:3], s[16:17]
	s_nop 0
	v_pk_mov_b32 v[0:1], s[12:13], s[12:13] op_sel:[0,1]
	v_pk_mov_b32 v[2:3], s[14:15], s[14:15] op_sel:[0,1]
	global_store_dwordx4 v10, v[0:3], s[16:17] offset:16
	global_store_dwordx4 v10, v[0:3], s[16:17] offset:32
	;; [unrolled: 1-line block ×3, first 2 shown]
	s_and_saveexec_b64 s[12:13], s[4:5]
	s_cbranch_execz .LBB0_103
; %bb.96:
	v_mov_b32_e32 v6, 0
	global_load_dwordx2 v[12:13], v6, s[8:9] offset:32 glc
	global_load_dwordx2 v[0:1], v6, s[8:9] offset:40
	v_mov_b32_e32 v10, s10
	v_mov_b32_e32 v11, s11
	s_waitcnt vmcnt(0)
	v_and_b32_e32 v0, s10, v0
	v_and_b32_e32 v1, s11, v1
	v_mul_lo_u32 v1, v1, 24
	v_mul_hi_u32 v2, v0, 24
	v_mul_lo_u32 v0, v0, 24
	v_add_u32_e32 v1, v2, v1
	v_add_co_u32_e32 v4, vcc, v4, v0
	v_addc_co_u32_e32 v5, vcc, v5, v1, vcc
	global_store_dwordx2 v[4:5], v[12:13], off
	buffer_wbl2
	s_waitcnt vmcnt(0)
	global_atomic_cmpswap_x2 v[2:3], v6, v[10:13], s[8:9] offset:32 glc
	s_waitcnt vmcnt(0)
	v_cmp_ne_u64_e32 vcc, v[2:3], v[12:13]
	s_and_saveexec_b64 s[14:15], vcc
	s_cbranch_execz .LBB0_99
; %bb.97:
	s_mov_b64 s[16:17], 0
.LBB0_98:                               ; =>This Inner Loop Header: Depth=1
	s_sleep 1
	global_store_dwordx2 v[4:5], v[2:3], off
	v_mov_b32_e32 v0, s10
	v_mov_b32_e32 v1, s11
	buffer_wbl2
	s_waitcnt vmcnt(0)
	global_atomic_cmpswap_x2 v[0:1], v6, v[0:3], s[8:9] offset:32 glc
	s_waitcnt vmcnt(0)
	v_cmp_eq_u64_e32 vcc, v[0:1], v[2:3]
	s_or_b64 s[16:17], vcc, s[16:17]
	v_pk_mov_b32 v[2:3], v[0:1], v[0:1] op_sel:[0,1]
	s_andn2_b64 exec, exec, s[16:17]
	s_cbranch_execnz .LBB0_98
.LBB0_99:
	s_or_b64 exec, exec, s[14:15]
	v_mov_b32_e32 v3, 0
	global_load_dwordx2 v[0:1], v3, s[8:9] offset:16
	s_mov_b64 s[14:15], exec
	v_mbcnt_lo_u32_b32 v2, s14, 0
	v_mbcnt_hi_u32_b32 v2, s15, v2
	v_cmp_eq_u32_e32 vcc, 0, v2
	s_and_saveexec_b64 s[16:17], vcc
	s_cbranch_execz .LBB0_101
; %bb.100:
	s_bcnt1_i32_b64 s14, s[14:15]
	v_mov_b32_e32 v2, s14
	buffer_wbl2
	s_waitcnt vmcnt(0)
	global_atomic_add_x2 v[0:1], v[2:3], off offset:8
.LBB0_101:
	s_or_b64 exec, exec, s[16:17]
	s_waitcnt vmcnt(0)
	global_load_dwordx2 v[2:3], v[0:1], off offset:16
	s_waitcnt vmcnt(0)
	v_cmp_eq_u64_e32 vcc, 0, v[2:3]
	s_cbranch_vccnz .LBB0_103
; %bb.102:
	global_load_dword v0, v[0:1], off offset:24
	v_mov_b32_e32 v1, 0
	buffer_wbl2
	s_waitcnt vmcnt(0)
	global_store_dwordx2 v[2:3], v[0:1], off
	v_and_b32_e32 v0, 0xffffff, v0
	v_readfirstlane_b32 m0, v0
	s_sendmsg sendmsg(MSG_INTERRUPT)
.LBB0_103:
	s_or_b64 exec, exec, s[12:13]
	s_branch .LBB0_107
.LBB0_104:                              ;   in Loop: Header=BB0_107 Depth=1
	s_or_b64 exec, exec, s[12:13]
	v_readfirstlane_b32 s12, v0
	s_cmp_eq_u32 s12, 0
	s_cbranch_scc1 .LBB0_106
; %bb.105:                              ;   in Loop: Header=BB0_107 Depth=1
	s_sleep 1
	s_cbranch_execnz .LBB0_107
	s_branch .LBB0_110
.LBB0_106:
	s_branch .LBB0_110
.LBB0_107:                              ; =>This Inner Loop Header: Depth=1
	v_mov_b32_e32 v0, 1
	s_and_saveexec_b64 s[12:13], s[4:5]
	s_cbranch_execz .LBB0_104
; %bb.108:                              ;   in Loop: Header=BB0_107 Depth=1
	global_load_dword v0, v[8:9], off offset:20 glc
	s_waitcnt vmcnt(0)
	buffer_invl2
	buffer_wbinvl1_vol
	v_and_b32_e32 v0, 1, v0
	s_branch .LBB0_104
.LBB0_109:
	s_or_b64 exec, exec, s[6:7]
	s_waitcnt vmcnt(0) lgkmcnt(0)
	s_setpc_b64 s[30:31]
.LBB0_110:
	s_and_saveexec_b64 s[12:13], s[4:5]
	s_cbranch_execz .LBB0_113
; %bb.111:
	v_mov_b32_e32 v6, 0
	global_load_dwordx2 v[4:5], v6, s[8:9] offset:40
	global_load_dwordx2 v[8:9], v6, s[8:9] offset:24 glc
	global_load_dwordx2 v[10:11], v6, s[8:9]
	v_mov_b32_e32 v1, s11
	s_mov_b64 s[4:5], 0
	s_waitcnt vmcnt(2)
	v_add_co_u32_e32 v3, vcc, 1, v4
	v_addc_co_u32_e32 v7, vcc, 0, v5, vcc
	v_add_co_u32_e32 v0, vcc, s10, v3
	v_addc_co_u32_e32 v1, vcc, v7, v1, vcc
	v_cmp_eq_u64_e32 vcc, 0, v[0:1]
	v_cndmask_b32_e32 v1, v1, v7, vcc
	v_cndmask_b32_e32 v0, v0, v3, vcc
	v_and_b32_e32 v3, v1, v5
	v_and_b32_e32 v4, v0, v4
	v_mul_lo_u32 v3, v3, 24
	v_mul_hi_u32 v5, v4, 24
	v_mul_lo_u32 v4, v4, 24
	v_add_u32_e32 v3, v5, v3
	s_waitcnt vmcnt(0)
	v_add_co_u32_e32 v4, vcc, v10, v4
	v_addc_co_u32_e32 v5, vcc, v11, v3, vcc
	v_mov_b32_e32 v2, v8
	global_store_dwordx2 v[4:5], v[8:9], off
	v_mov_b32_e32 v3, v9
	buffer_wbl2
	s_waitcnt vmcnt(0)
	global_atomic_cmpswap_x2 v[2:3], v6, v[0:3], s[8:9] offset:24 glc
	s_waitcnt vmcnt(0)
	v_cmp_ne_u64_e32 vcc, v[2:3], v[8:9]
	s_and_b64 exec, exec, vcc
	s_cbranch_execz .LBB0_113
.LBB0_112:                              ; =>This Inner Loop Header: Depth=1
	s_sleep 1
	global_store_dwordx2 v[4:5], v[2:3], off
	buffer_wbl2
	s_waitcnt vmcnt(0)
	global_atomic_cmpswap_x2 v[8:9], v6, v[0:3], s[8:9] offset:24 glc
	s_waitcnt vmcnt(0)
	v_cmp_eq_u64_e32 vcc, v[8:9], v[2:3]
	s_or_b64 s[4:5], vcc, s[4:5]
	v_pk_mov_b32 v[2:3], v[8:9], v[8:9] op_sel:[0,1]
	s_andn2_b64 exec, exec, s[4:5]
	s_cbranch_execnz .LBB0_112
.LBB0_113:
	s_or_b64 exec, exec, s[12:13]
	s_or_b64 exec, exec, s[6:7]
	s_waitcnt vmcnt(0) lgkmcnt(0)
	s_setpc_b64 s[30:31]
.Lfunc_end0:
	.size	__ockl_fprintf_append_string_n, .Lfunc_end0-__ockl_fprintf_append_string_n
                                        ; -- End function
	.section	.AMDGPU.csdata,"",@progbits
; Function info:
; codeLenInByte = 4372
; NumSgprs: 36
; NumVgprs: 38
; NumAgprs: 0
; TotalNumVgprs: 38
; ScratchSize: 0
; MemoryBound: 0
	.text
	.p2align	2                               ; -- Begin function __assert_fail
	.type	__assert_fail,@function
__assert_fail:                          ; @__assert_fail
; %bb.0:
	s_waitcnt vmcnt(0) expcnt(0) lgkmcnt(0)
	s_mov_b32 s25, s33
	s_mov_b32 s33, s32
	s_or_saveexec_b64 s[4:5], -1
	buffer_store_dword v40, off, s[0:3], s33 offset:48 ; 4-byte Folded Spill
	s_mov_b64 exec, s[4:5]
	v_writelane_b32 v40, s30, 0
	s_addk_i32 s32, 0x1000
	v_writelane_b32 v40, s31, 1
	s_getpc_b64 s[4:5]
	s_add_u32 s4, s4, __const.__assert_fail.fmt@rel32@lo+4
	s_addc_u32 s5, s5, __const.__assert_fail.fmt@rel32@hi+12
	s_load_dwordx4 s[4:7], s[4:5], 0x0
	v_mov_b32_e32 v35, v6
	v_mov_b32_e32 v6, v0
	;; [unrolled: 1-line block ×3, first 2 shown]
	buffer_store_short v0, off, s[0:3], s33 offset:44
	v_mov_b32_e32 v0, 0x64656c69
	buffer_store_dword v0, off, s[0:3], s33 offset:40
	v_mov_b32_e32 v0, 0x61662027
	s_getpc_b64 s[10:11]
	s_add_u32 s10, s10, __const.__assert_fail.fmt@rel32@lo+20
	s_addc_u32 s11, s11, __const.__assert_fail.fmt@rel32@hi+28
	buffer_store_dword v0, off, s[0:3], s33 offset:36
	v_mov_b32_e32 v0, 0x73256020
	s_load_dwordx4 s[12:15], s[10:11], 0x0
	buffer_store_dword v0, off, s[0:3], s33 offset:32
	s_waitcnt lgkmcnt(0)
	v_mov_b32_e32 v0, s7
	buffer_store_dword v0, off, s[0:3], s33 offset:12
	v_mov_b32_e32 v0, s6
	buffer_store_dword v0, off, s[0:3], s33 offset:8
	;; [unrolled: 2-line block ×3, first 2 shown]
	v_mov_b32_e32 v0, s4
	buffer_store_dword v0, off, s[0:3], s33
	v_mov_b32_e32 v0, s15
	buffer_store_dword v0, off, s[0:3], s33 offset:28
	v_mov_b32_e32 v0, s14
	buffer_store_dword v0, off, s[0:3], s33 offset:24
	;; [unrolled: 2-line block ×3, first 2 shown]
	v_mov_b32_e32 v0, s12
	s_load_dwordx2 s[10:11], s[8:9], 0x50
	buffer_store_dword v0, off, s[0:3], s33 offset:16
	v_mbcnt_lo_u32_b32 v0, -1, 0
	v_mbcnt_hi_u32_b32 v53, -1, v0
	v_readfirstlane_b32 s4, v53
	v_mov_b32_e32 v34, v5
	v_mov_b32_e32 v7, v1
	;; [unrolled: 1-line block ×3, first 2 shown]
	v_cmp_eq_u32_e64 s[4:5], s4, v53
	v_pk_mov_b32 v[0:1], 0, 0
	buffer_store_byte v5, off, s[0:3], s33 offset:46
	s_and_saveexec_b64 s[6:7], s[4:5]
	s_cbranch_execz .LBB1_6
; %bb.1:
	s_waitcnt lgkmcnt(0)
	global_load_dwordx2 v[10:11], v5, s[10:11] offset:24 glc
	s_waitcnt vmcnt(0)
	buffer_invl2
	buffer_wbinvl1_vol
	global_load_dwordx2 v[0:1], v5, s[10:11] offset:40
	global_load_dwordx2 v[8:9], v5, s[10:11]
	s_waitcnt vmcnt(1)
	v_and_b32_e32 v0, v0, v10
	v_and_b32_e32 v1, v1, v11
	v_mul_lo_u32 v1, v1, 24
	v_mul_hi_u32 v12, v0, 24
	v_mul_lo_u32 v0, v0, 24
	v_add_u32_e32 v1, v12, v1
	s_waitcnt vmcnt(0)
	v_add_co_u32_e32 v0, vcc, v8, v0
	v_addc_co_u32_e32 v1, vcc, v9, v1, vcc
	global_load_dwordx2 v[8:9], v[0:1], off glc
	s_waitcnt vmcnt(0)
	global_atomic_cmpswap_x2 v[0:1], v5, v[8:11], s[10:11] offset:24 glc
	s_waitcnt vmcnt(0)
	buffer_invl2
	buffer_wbinvl1_vol
	v_cmp_ne_u64_e32 vcc, v[0:1], v[10:11]
	s_and_saveexec_b64 s[12:13], vcc
	s_cbranch_execz .LBB1_5
; %bb.2:
	s_mov_b64 s[14:15], 0
.LBB1_3:                                ; =>This Inner Loop Header: Depth=1
	s_sleep 1
	global_load_dwordx2 v[8:9], v5, s[10:11] offset:40
	global_load_dwordx2 v[12:13], v5, s[10:11]
	v_pk_mov_b32 v[10:11], v[0:1], v[0:1] op_sel:[0,1]
	s_waitcnt vmcnt(1)
	v_and_b32_e32 v0, v8, v10
	s_waitcnt vmcnt(0)
	v_mad_u64_u32 v[0:1], s[16:17], v0, 24, v[12:13]
	v_and_b32_e32 v9, v9, v11
	v_mov_b32_e32 v8, v1
	v_mad_u64_u32 v[8:9], s[16:17], v9, 24, v[8:9]
	v_mov_b32_e32 v1, v8
	global_load_dwordx2 v[8:9], v[0:1], off glc
	s_waitcnt vmcnt(0)
	global_atomic_cmpswap_x2 v[0:1], v5, v[8:11], s[10:11] offset:24 glc
	s_waitcnt vmcnt(0)
	buffer_invl2
	buffer_wbinvl1_vol
	v_cmp_eq_u64_e32 vcc, v[0:1], v[10:11]
	s_or_b64 s[14:15], vcc, s[14:15]
	s_andn2_b64 exec, exec, s[14:15]
	s_cbranch_execnz .LBB1_3
; %bb.4:
	s_or_b64 exec, exec, s[14:15]
.LBB1_5:
	s_or_b64 exec, exec, s[12:13]
.LBB1_6:
	s_or_b64 exec, exec, s[6:7]
	s_waitcnt lgkmcnt(0)
	global_load_dwordx2 v[12:13], v5, s[10:11] offset:40
	global_load_dwordx4 v[8:11], v5, s[10:11]
	v_readfirstlane_b32 s6, v0
	v_readfirstlane_b32 s7, v1
	s_mov_b64 s[12:13], exec
	s_waitcnt vmcnt(1)
	v_readfirstlane_b32 s14, v12
	v_readfirstlane_b32 s15, v13
	s_and_b64 s[14:15], s[6:7], s[14:15]
	s_mul_i32 s16, s15, 24
	s_mul_hi_u32 s17, s14, 24
	s_mul_i32 s18, s14, 24
	s_add_i32 s16, s17, s16
	v_mov_b32_e32 v1, s16
	s_waitcnt vmcnt(0)
	v_add_co_u32_e32 v0, vcc, s18, v8
	v_addc_co_u32_e32 v1, vcc, v9, v1, vcc
	s_and_saveexec_b64 s[16:17], s[4:5]
	s_cbranch_execz .LBB1_8
; %bb.7:
	v_pk_mov_b32 v[12:13], s[12:13], s[12:13] op_sel:[0,1]
	v_mov_b32_e32 v14, 2
	v_mov_b32_e32 v15, 1
	global_store_dwordx4 v[0:1], v[12:15], off offset:8
.LBB1_8:
	s_or_b64 exec, exec, s[16:17]
	s_lshl_b64 s[12:13], s[14:15], 12
	v_mov_b32_e32 v5, s13
	v_add_co_u32_e32 v14, vcc, s12, v10
	v_addc_co_u32_e32 v5, vcc, v11, v5, vcc
	s_mov_b32 s12, 0
	v_mov_b32_e32 v11, 0
	v_lshlrev_b32_e32 v52, 6, v53
	v_mov_b32_e32 v10, 33
	v_mov_b32_e32 v12, 1
	;; [unrolled: 1-line block ×3, first 2 shown]
	v_readfirstlane_b32 s16, v14
	v_readfirstlane_b32 s17, v5
	s_mov_b32 s13, s12
	v_add_co_u32_e32 v16, vcc, v14, v52
	s_mov_b32 s14, s12
	s_mov_b32 s15, s12
	s_nop 0
	global_store_dwordx4 v52, v[10:13], s[16:17]
	v_addc_co_u32_e32 v17, vcc, 0, v5, vcc
	v_pk_mov_b32 v[12:13], s[12:13], s[12:13] op_sel:[0,1]
	v_pk_mov_b32 v[14:15], s[14:15], s[14:15] op_sel:[0,1]
	global_store_dwordx4 v52, v[12:15], s[16:17] offset:16
	global_store_dwordx4 v52, v[12:15], s[16:17] offset:32
	;; [unrolled: 1-line block ×3, first 2 shown]
	s_and_saveexec_b64 s[12:13], s[4:5]
	s_cbranch_execz .LBB1_16
; %bb.9:
	global_load_dwordx2 v[20:21], v11, s[10:11] offset:32 glc
	global_load_dwordx2 v[12:13], v11, s[10:11] offset:40
	v_mov_b32_e32 v18, s6
	v_mov_b32_e32 v19, s7
	s_waitcnt vmcnt(0)
	v_and_b32_e32 v5, s6, v12
	v_and_b32_e32 v10, s7, v13
	v_mul_lo_u32 v10, v10, 24
	v_mul_hi_u32 v12, v5, 24
	v_mul_lo_u32 v5, v5, 24
	v_add_u32_e32 v10, v12, v10
	v_add_co_u32_e32 v8, vcc, v8, v5
	v_addc_co_u32_e32 v9, vcc, v9, v10, vcc
	global_store_dwordx2 v[8:9], v[20:21], off
	buffer_wbl2
	s_waitcnt vmcnt(0)
	global_atomic_cmpswap_x2 v[14:15], v11, v[18:21], s[10:11] offset:32 glc
	s_waitcnt vmcnt(0)
	v_cmp_ne_u64_e32 vcc, v[14:15], v[20:21]
	s_and_saveexec_b64 s[14:15], vcc
	s_cbranch_execz .LBB1_12
; %bb.10:
	s_mov_b64 s[16:17], 0
.LBB1_11:                               ; =>This Inner Loop Header: Depth=1
	s_sleep 1
	global_store_dwordx2 v[8:9], v[14:15], off
	v_mov_b32_e32 v12, s6
	v_mov_b32_e32 v13, s7
	buffer_wbl2
	s_waitcnt vmcnt(0)
	global_atomic_cmpswap_x2 v[12:13], v11, v[12:15], s[10:11] offset:32 glc
	s_waitcnt vmcnt(0)
	v_cmp_eq_u64_e32 vcc, v[12:13], v[14:15]
	s_or_b64 s[16:17], vcc, s[16:17]
	v_pk_mov_b32 v[14:15], v[12:13], v[12:13] op_sel:[0,1]
	s_andn2_b64 exec, exec, s[16:17]
	s_cbranch_execnz .LBB1_11
.LBB1_12:
	s_or_b64 exec, exec, s[14:15]
	v_mov_b32_e32 v11, 0
	global_load_dwordx2 v[8:9], v11, s[10:11] offset:16
	s_mov_b64 s[14:15], exec
	v_mbcnt_lo_u32_b32 v5, s14, 0
	v_mbcnt_hi_u32_b32 v5, s15, v5
	v_cmp_eq_u32_e32 vcc, 0, v5
	s_and_saveexec_b64 s[16:17], vcc
	s_cbranch_execz .LBB1_14
; %bb.13:
	s_bcnt1_i32_b64 s14, s[14:15]
	v_mov_b32_e32 v10, s14
	buffer_wbl2
	s_waitcnt vmcnt(0)
	global_atomic_add_x2 v[8:9], v[10:11], off offset:8
.LBB1_14:
	s_or_b64 exec, exec, s[16:17]
	s_waitcnt vmcnt(0)
	global_load_dwordx2 v[10:11], v[8:9], off offset:16
	s_waitcnt vmcnt(0)
	v_cmp_eq_u64_e32 vcc, 0, v[10:11]
	s_cbranch_vccnz .LBB1_16
; %bb.15:
	global_load_dword v8, v[8:9], off offset:24
	v_mov_b32_e32 v9, 0
	s_waitcnt vmcnt(0)
	v_and_b32_e32 v5, 0xffffff, v8
	v_readfirstlane_b32 m0, v5
	buffer_wbl2
	global_store_dwordx2 v[10:11], v[8:9], off
	s_sendmsg sendmsg(MSG_INTERRUPT)
.LBB1_16:
	s_or_b64 exec, exec, s[12:13]
	s_branch .LBB1_20
.LBB1_17:                               ;   in Loop: Header=BB1_20 Depth=1
	s_or_b64 exec, exec, s[12:13]
	v_readfirstlane_b32 s12, v5
	s_cmp_eq_u32 s12, 0
	s_cbranch_scc1 .LBB1_19
; %bb.18:                               ;   in Loop: Header=BB1_20 Depth=1
	s_sleep 1
	s_cbranch_execnz .LBB1_20
	s_branch .LBB1_22
.LBB1_19:
	s_branch .LBB1_22
.LBB1_20:                               ; =>This Inner Loop Header: Depth=1
	v_mov_b32_e32 v5, 1
	s_and_saveexec_b64 s[12:13], s[4:5]
	s_cbranch_execz .LBB1_17
; %bb.21:                               ;   in Loop: Header=BB1_20 Depth=1
	global_load_dword v5, v[0:1], off offset:20 glc
	s_waitcnt vmcnt(0)
	buffer_invl2
	buffer_wbinvl1_vol
	v_and_b32_e32 v5, 1, v5
	s_branch .LBB1_17
.LBB1_22:
	global_load_dwordx2 v[12:13], v[16:17], off
	s_and_saveexec_b64 s[12:13], s[4:5]
	s_cbranch_execz .LBB1_25
; %bb.23:
	v_mov_b32_e32 v5, 0
	global_load_dwordx2 v[0:1], v5, s[10:11] offset:40
	global_load_dwordx2 v[14:15], v5, s[10:11] offset:24 glc
	global_load_dwordx2 v[16:17], v5, s[10:11]
	v_mov_b32_e32 v9, s7
	s_mov_b64 s[4:5], 0
	s_waitcnt vmcnt(2)
	v_add_co_u32_e32 v11, vcc, 1, v0
	v_addc_co_u32_e32 v18, vcc, 0, v1, vcc
	v_add_co_u32_e32 v8, vcc, s6, v11
	v_addc_co_u32_e32 v9, vcc, v18, v9, vcc
	v_cmp_eq_u64_e32 vcc, 0, v[8:9]
	v_cndmask_b32_e32 v9, v9, v18, vcc
	v_cndmask_b32_e32 v8, v8, v11, vcc
	v_and_b32_e32 v1, v9, v1
	v_and_b32_e32 v0, v8, v0
	v_mul_lo_u32 v1, v1, 24
	v_mul_hi_u32 v11, v0, 24
	v_mul_lo_u32 v0, v0, 24
	v_add_u32_e32 v1, v11, v1
	s_waitcnt vmcnt(0)
	v_add_co_u32_e32 v0, vcc, v16, v0
	v_addc_co_u32_e32 v1, vcc, v17, v1, vcc
	v_mov_b32_e32 v10, v14
	global_store_dwordx2 v[0:1], v[14:15], off
	v_mov_b32_e32 v11, v15
	buffer_wbl2
	s_waitcnt vmcnt(0)
	global_atomic_cmpswap_x2 v[10:11], v5, v[8:11], s[10:11] offset:24 glc
	s_waitcnt vmcnt(0)
	v_cmp_ne_u64_e32 vcc, v[10:11], v[14:15]
	s_and_b64 exec, exec, vcc
	s_cbranch_execz .LBB1_25
.LBB1_24:                               ; =>This Inner Loop Header: Depth=1
	s_sleep 1
	global_store_dwordx2 v[0:1], v[10:11], off
	buffer_wbl2
	s_waitcnt vmcnt(0)
	global_atomic_cmpswap_x2 v[14:15], v5, v[8:11], s[10:11] offset:24 glc
	s_waitcnt vmcnt(0)
	v_cmp_eq_u64_e32 vcc, v[14:15], v[10:11]
	s_or_b64 s[4:5], vcc, s[4:5]
	v_pk_mov_b32 v[10:11], v[14:15], v[14:15] op_sel:[0,1]
	s_andn2_b64 exec, exec, s[4:5]
	s_cbranch_execnz .LBB1_24
.LBB1_25:
	s_or_b64 exec, exec, s[12:13]
	v_lshrrev_b32_e64 v1, 6, s33
	s_mov_b64 s[4:5], 0
.LBB1_26:                               ; =>This Inner Loop Header: Depth=1
	buffer_load_ubyte v5, v1, s[0:3], 0 offen
	v_add_u32_e32 v0, 1, v1
	v_mov_b32_e32 v1, v0
	s_waitcnt vmcnt(0)
	v_cmp_eq_u16_e32 vcc, 0, v5
	s_or_b64 s[4:5], vcc, s[4:5]
	s_andn2_b64 exec, exec, s[4:5]
	s_cbranch_execnz .LBB1_26
; %bb.27:
	s_or_b64 exec, exec, s[4:5]
	v_lshrrev_b32_e64 v37, 6, s33
	v_cmp_ne_u32_e32 vcc, -1, v37
	s_cbranch_vccz .LBB1_112
; %bb.28:
	v_lshrrev_b32_e64 v1, 6, s33
	v_subrev_u32_e32 v0, v1, v0
	v_ashrrev_i32_e32 v1, 31, v0
	v_and_b32_e32 v36, 2, v12
	v_mov_b32_e32 v39, 0
	v_and_b32_e32 v8, -3, v12
	v_mov_b32_e32 v9, v13
	s_mov_b64 s[12:13], 0
	s_mov_b32 s20, 0
	s_movk_i32 s21, 0xff1f
	v_mov_b32_e32 v16, 2
	v_mov_b32_e32 v17, 1
	s_branch .LBB1_30
.LBB1_29:                               ;   in Loop: Header=BB1_30 Depth=1
	s_or_b64 exec, exec, s[6:7]
	v_sub_co_u32_e32 v0, vcc, v0, v50
	v_subb_co_u32_e32 v1, vcc, v1, v15, vcc
	v_cmp_eq_u64_e32 vcc, 0, v[0:1]
	s_or_b64 s[12:13], vcc, s[12:13]
	v_add_u32_e32 v37, v37, v50
	s_andn2_b64 exec, exec, s[12:13]
	s_cbranch_execz .LBB1_113
.LBB1_30:                               ; =>This Loop Header: Depth=1
                                        ;     Child Loop BB1_33 Depth 2
                                        ;     Child Loop BB1_41 Depth 2
	;; [unrolled: 1-line block ×11, first 2 shown]
	v_cmp_gt_u64_e32 vcc, 56, v[0:1]
	v_cndmask_b32_e32 v50, 56, v0, vcc
	v_cmp_gt_u64_e64 s[4:5], 8, v[0:1]
                                        ; implicit-def: $vgpr10_vgpr11
                                        ; implicit-def: $sgpr14
	s_and_saveexec_b64 s[6:7], s[4:5]
	s_xor_b64 s[6:7], exec, s[6:7]
	s_cbranch_execz .LBB1_36
; %bb.31:                               ;   in Loop: Header=BB1_30 Depth=1
	s_mov_b64 s[16:17], 0
	v_cmp_ne_u64_e64 s[4:5], 0, v[0:1]
	s_waitcnt vmcnt(0)
	v_pk_mov_b32 v[10:11], 0, 0
	s_and_saveexec_b64 s[14:15], s[4:5]
	s_cbranch_execz .LBB1_35
; %bb.32:                               ;   in Loop: Header=BB1_30 Depth=1
	s_mov_b32 s22, 0
	v_pk_mov_b32 v[10:11], 0, 0
	s_mov_b64 s[18:19], 0
.LBB1_33:                               ;   Parent Loop BB1_30 Depth=1
                                        ; =>  This Inner Loop Header: Depth=2
	v_add_u32_e32 v5, s22, v37
	buffer_load_ubyte v5, v5, s[0:3], 0 offen
	v_mov_b32_e32 v15, s20
	s_add_i32 s22, s22, 1
	v_cmp_eq_u32_e64 s[4:5], s22, v50
	s_waitcnt vmcnt(0)
	v_and_b32_e32 v14, 0xffff, v5
	v_lshlrev_b64 v[14:15], s18, v[14:15]
	s_add_u32 s18, s18, 8
	s_addc_u32 s19, s19, 0
	v_or_b32_e32 v11, v15, v11
	s_or_b64 s[16:17], s[4:5], s[16:17]
	v_or_b32_e32 v10, v14, v10
	s_andn2_b64 exec, exec, s[16:17]
	s_cbranch_execnz .LBB1_33
; %bb.34:                               ;   in Loop: Header=BB1_30 Depth=1
	s_or_b64 exec, exec, s[16:17]
.LBB1_35:                               ;   in Loop: Header=BB1_30 Depth=1
	s_or_b64 exec, exec, s[14:15]
	s_mov_b32 s14, 0
.LBB1_36:                               ;   in Loop: Header=BB1_30 Depth=1
	s_or_saveexec_b64 s[4:5], s[6:7]
	v_mov_b32_e32 v14, s14
	v_mov_b32_e32 v5, v37
	s_xor_b64 exec, exec, s[4:5]
	s_cbranch_execz .LBB1_38
; %bb.37:                               ;   in Loop: Header=BB1_30 Depth=1
	buffer_load_dword v5, v37, s[0:3], 0 offen offset:4
	buffer_load_dword v10, v37, s[0:3], 0 offen
	v_add_u32_e32 v14, -8, v50
	s_waitcnt vmcnt(1)
	v_and_b32_e32 v11, 0xff, v5
	v_and_b32_e32 v15, 0xff00, v5
	s_waitcnt vmcnt(0)
	v_or3_b32 v10, v10, 0, 0
	v_and_b32_e32 v18, 0xff0000, v5
	v_and_b32_e32 v5, 0xff000000, v5
	v_or3_b32 v11, 0, v11, v15
	v_or3_b32 v10, v10, 0, 0
	;; [unrolled: 1-line block ×3, first 2 shown]
	v_add_u32_e32 v5, 8, v37
.LBB1_38:                               ;   in Loop: Header=BB1_30 Depth=1
	s_or_b64 exec, exec, s[4:5]
	v_cmp_gt_u32_e64 s[4:5], 8, v14
                                        ; implicit-def: $vgpr18_vgpr19
                                        ; implicit-def: $sgpr14
	s_and_saveexec_b64 s[6:7], s[4:5]
	s_xor_b64 s[6:7], exec, s[6:7]
	s_cbranch_execz .LBB1_44
; %bb.39:                               ;   in Loop: Header=BB1_30 Depth=1
	v_cmp_ne_u32_e64 s[4:5], 0, v14
	v_pk_mov_b32 v[18:19], 0, 0
	s_and_saveexec_b64 s[14:15], s[4:5]
	s_cbranch_execz .LBB1_43
; %bb.40:                               ;   in Loop: Header=BB1_30 Depth=1
	s_mov_b32 s22, 0
	s_mov_b64 s[16:17], 0
	v_pk_mov_b32 v[18:19], 0, 0
	s_mov_b64 s[18:19], 0
.LBB1_41:                               ;   Parent Loop BB1_30 Depth=1
                                        ; =>  This Inner Loop Header: Depth=2
	v_add_u32_e32 v15, s22, v5
	buffer_load_ubyte v15, v15, s[0:3], 0 offen
	v_mov_b32_e32 v21, s20
	s_add_i32 s22, s22, 1
	v_cmp_eq_u32_e64 s[4:5], s22, v14
	s_waitcnt vmcnt(0)
	v_and_b32_e32 v20, 0xffff, v15
	v_lshlrev_b64 v[20:21], s18, v[20:21]
	s_add_u32 s18, s18, 8
	s_addc_u32 s19, s19, 0
	v_or_b32_e32 v19, v21, v19
	s_or_b64 s[16:17], s[4:5], s[16:17]
	v_or_b32_e32 v18, v20, v18
	s_andn2_b64 exec, exec, s[16:17]
	s_cbranch_execnz .LBB1_41
; %bb.42:                               ;   in Loop: Header=BB1_30 Depth=1
	s_or_b64 exec, exec, s[16:17]
.LBB1_43:                               ;   in Loop: Header=BB1_30 Depth=1
	s_or_b64 exec, exec, s[14:15]
	s_mov_b32 s14, 0
                                        ; implicit-def: $vgpr14
.LBB1_44:                               ;   in Loop: Header=BB1_30 Depth=1
	s_or_saveexec_b64 s[4:5], s[6:7]
	v_mov_b32_e32 v15, s14
	s_xor_b64 exec, exec, s[4:5]
	s_cbranch_execz .LBB1_46
; %bb.45:                               ;   in Loop: Header=BB1_30 Depth=1
	buffer_load_dword v18, v5, s[0:3], 0 offen offset:4
	buffer_load_dword v19, v5, s[0:3], 0 offen
	v_add_u32_e32 v15, -8, v14
	v_add_u32_e32 v5, 8, v5
	s_waitcnt vmcnt(1)
	v_and_b32_e32 v14, 0xff, v18
	v_and_b32_e32 v20, 0xff00, v18
	s_waitcnt vmcnt(0)
	v_or3_b32 v19, v19, 0, 0
	v_and_b32_e32 v21, 0xff0000, v18
	v_and_b32_e32 v22, 0xff000000, v18
	v_or3_b32 v14, 0, v14, v20
	v_or3_b32 v18, v19, 0, 0
	;; [unrolled: 1-line block ×3, first 2 shown]
.LBB1_46:                               ;   in Loop: Header=BB1_30 Depth=1
	s_or_b64 exec, exec, s[4:5]
	v_cmp_gt_u32_e64 s[4:5], 8, v15
                                        ; implicit-def: $sgpr14
	s_and_saveexec_b64 s[6:7], s[4:5]
	s_xor_b64 s[6:7], exec, s[6:7]
	s_cbranch_execz .LBB1_52
; %bb.47:                               ;   in Loop: Header=BB1_30 Depth=1
	v_cmp_ne_u32_e64 s[4:5], 0, v15
	v_pk_mov_b32 v[20:21], 0, 0
	s_and_saveexec_b64 s[14:15], s[4:5]
	s_cbranch_execz .LBB1_51
; %bb.48:                               ;   in Loop: Header=BB1_30 Depth=1
	s_mov_b32 s22, 0
	s_mov_b64 s[16:17], 0
	v_pk_mov_b32 v[20:21], 0, 0
	s_mov_b64 s[18:19], 0
.LBB1_49:                               ;   Parent Loop BB1_30 Depth=1
                                        ; =>  This Inner Loop Header: Depth=2
	v_add_u32_e32 v14, s22, v5
	buffer_load_ubyte v14, v14, s[0:3], 0 offen
	v_mov_b32_e32 v23, s20
	s_add_i32 s22, s22, 1
	v_cmp_eq_u32_e64 s[4:5], s22, v15
	s_waitcnt vmcnt(0)
	v_and_b32_e32 v22, 0xffff, v14
	v_lshlrev_b64 v[22:23], s18, v[22:23]
	s_add_u32 s18, s18, 8
	s_addc_u32 s19, s19, 0
	v_or_b32_e32 v21, v23, v21
	s_or_b64 s[16:17], s[4:5], s[16:17]
	v_or_b32_e32 v20, v22, v20
	s_andn2_b64 exec, exec, s[16:17]
	s_cbranch_execnz .LBB1_49
; %bb.50:                               ;   in Loop: Header=BB1_30 Depth=1
	s_or_b64 exec, exec, s[16:17]
.LBB1_51:                               ;   in Loop: Header=BB1_30 Depth=1
	s_or_b64 exec, exec, s[14:15]
	s_mov_b32 s14, 0
                                        ; implicit-def: $vgpr15
.LBB1_52:                               ;   in Loop: Header=BB1_30 Depth=1
	s_or_saveexec_b64 s[4:5], s[6:7]
	v_mov_b32_e32 v14, s14
	s_xor_b64 exec, exec, s[4:5]
	s_cbranch_execz .LBB1_54
; %bb.53:                               ;   in Loop: Header=BB1_30 Depth=1
	buffer_load_dword v20, v5, s[0:3], 0 offen offset:4
	buffer_load_dword v21, v5, s[0:3], 0 offen
	v_add_u32_e32 v14, -8, v15
	v_add_u32_e32 v5, 8, v5
	s_waitcnt vmcnt(1)
	v_and_b32_e32 v15, 0xff, v20
	v_and_b32_e32 v22, 0xff00, v20
	s_waitcnt vmcnt(0)
	v_or3_b32 v21, v21, 0, 0
	v_and_b32_e32 v23, 0xff0000, v20
	v_and_b32_e32 v24, 0xff000000, v20
	v_or3_b32 v15, 0, v15, v22
	v_or3_b32 v20, v21, 0, 0
	;; [unrolled: 1-line block ×3, first 2 shown]
.LBB1_54:                               ;   in Loop: Header=BB1_30 Depth=1
	s_or_b64 exec, exec, s[4:5]
	v_cmp_gt_u32_e64 s[4:5], 8, v14
                                        ; implicit-def: $vgpr22_vgpr23
                                        ; implicit-def: $sgpr14
	s_and_saveexec_b64 s[6:7], s[4:5]
	s_xor_b64 s[6:7], exec, s[6:7]
	s_cbranch_execz .LBB1_60
; %bb.55:                               ;   in Loop: Header=BB1_30 Depth=1
	v_cmp_ne_u32_e64 s[4:5], 0, v14
	v_pk_mov_b32 v[22:23], 0, 0
	s_and_saveexec_b64 s[14:15], s[4:5]
	s_cbranch_execz .LBB1_59
; %bb.56:                               ;   in Loop: Header=BB1_30 Depth=1
	s_mov_b32 s22, 0
	s_mov_b64 s[16:17], 0
	v_pk_mov_b32 v[22:23], 0, 0
	s_mov_b64 s[18:19], 0
.LBB1_57:                               ;   Parent Loop BB1_30 Depth=1
                                        ; =>  This Inner Loop Header: Depth=2
	v_add_u32_e32 v15, s22, v5
	buffer_load_ubyte v15, v15, s[0:3], 0 offen
	v_mov_b32_e32 v25, s20
	s_add_i32 s22, s22, 1
	v_cmp_eq_u32_e64 s[4:5], s22, v14
	s_waitcnt vmcnt(0)
	v_and_b32_e32 v24, 0xffff, v15
	v_lshlrev_b64 v[24:25], s18, v[24:25]
	s_add_u32 s18, s18, 8
	s_addc_u32 s19, s19, 0
	v_or_b32_e32 v23, v25, v23
	s_or_b64 s[16:17], s[4:5], s[16:17]
	v_or_b32_e32 v22, v24, v22
	s_andn2_b64 exec, exec, s[16:17]
	s_cbranch_execnz .LBB1_57
; %bb.58:                               ;   in Loop: Header=BB1_30 Depth=1
	s_or_b64 exec, exec, s[16:17]
.LBB1_59:                               ;   in Loop: Header=BB1_30 Depth=1
	s_or_b64 exec, exec, s[14:15]
	s_mov_b32 s14, 0
                                        ; implicit-def: $vgpr14
.LBB1_60:                               ;   in Loop: Header=BB1_30 Depth=1
	s_or_saveexec_b64 s[4:5], s[6:7]
	v_mov_b32_e32 v15, s14
	s_xor_b64 exec, exec, s[4:5]
	s_cbranch_execz .LBB1_62
; %bb.61:                               ;   in Loop: Header=BB1_30 Depth=1
	buffer_load_dword v22, v5, s[0:3], 0 offen offset:4
	buffer_load_dword v23, v5, s[0:3], 0 offen
	v_add_u32_e32 v15, -8, v14
	v_add_u32_e32 v5, 8, v5
	s_waitcnt vmcnt(1)
	v_and_b32_e32 v14, 0xff, v22
	v_and_b32_e32 v24, 0xff00, v22
	s_waitcnt vmcnt(0)
	v_or3_b32 v23, v23, 0, 0
	v_and_b32_e32 v25, 0xff0000, v22
	v_and_b32_e32 v26, 0xff000000, v22
	v_or3_b32 v14, 0, v14, v24
	v_or3_b32 v22, v23, 0, 0
	;; [unrolled: 1-line block ×3, first 2 shown]
.LBB1_62:                               ;   in Loop: Header=BB1_30 Depth=1
	s_or_b64 exec, exec, s[4:5]
	v_cmp_gt_u32_e64 s[4:5], 8, v15
                                        ; implicit-def: $sgpr14
	s_and_saveexec_b64 s[6:7], s[4:5]
	s_xor_b64 s[6:7], exec, s[6:7]
	s_cbranch_execz .LBB1_68
; %bb.63:                               ;   in Loop: Header=BB1_30 Depth=1
	v_cmp_ne_u32_e64 s[4:5], 0, v15
	v_pk_mov_b32 v[24:25], 0, 0
	s_and_saveexec_b64 s[14:15], s[4:5]
	s_cbranch_execz .LBB1_67
; %bb.64:                               ;   in Loop: Header=BB1_30 Depth=1
	s_mov_b32 s22, 0
	s_mov_b64 s[16:17], 0
	v_pk_mov_b32 v[24:25], 0, 0
	s_mov_b64 s[18:19], 0
.LBB1_65:                               ;   Parent Loop BB1_30 Depth=1
                                        ; =>  This Inner Loop Header: Depth=2
	v_add_u32_e32 v14, s22, v5
	buffer_load_ubyte v14, v14, s[0:3], 0 offen
	v_mov_b32_e32 v27, s20
	s_add_i32 s22, s22, 1
	v_cmp_eq_u32_e64 s[4:5], s22, v15
	s_waitcnt vmcnt(0)
	v_and_b32_e32 v26, 0xffff, v14
	v_lshlrev_b64 v[26:27], s18, v[26:27]
	s_add_u32 s18, s18, 8
	s_addc_u32 s19, s19, 0
	v_or_b32_e32 v25, v27, v25
	s_or_b64 s[16:17], s[4:5], s[16:17]
	v_or_b32_e32 v24, v26, v24
	s_andn2_b64 exec, exec, s[16:17]
	s_cbranch_execnz .LBB1_65
; %bb.66:                               ;   in Loop: Header=BB1_30 Depth=1
	s_or_b64 exec, exec, s[16:17]
.LBB1_67:                               ;   in Loop: Header=BB1_30 Depth=1
	s_or_b64 exec, exec, s[14:15]
	s_mov_b32 s14, 0
                                        ; implicit-def: $vgpr15
.LBB1_68:                               ;   in Loop: Header=BB1_30 Depth=1
	s_or_saveexec_b64 s[4:5], s[6:7]
	v_mov_b32_e32 v14, s14
	s_xor_b64 exec, exec, s[4:5]
	s_cbranch_execz .LBB1_70
; %bb.69:                               ;   in Loop: Header=BB1_30 Depth=1
	buffer_load_dword v24, v5, s[0:3], 0 offen offset:4
	buffer_load_dword v25, v5, s[0:3], 0 offen
	v_add_u32_e32 v14, -8, v15
	v_add_u32_e32 v5, 8, v5
	s_waitcnt vmcnt(1)
	v_and_b32_e32 v15, 0xff, v24
	v_and_b32_e32 v26, 0xff00, v24
	s_waitcnt vmcnt(0)
	v_or3_b32 v25, v25, 0, 0
	v_and_b32_e32 v27, 0xff0000, v24
	v_and_b32_e32 v28, 0xff000000, v24
	v_or3_b32 v15, 0, v15, v26
	v_or3_b32 v24, v25, 0, 0
	;; [unrolled: 1-line block ×3, first 2 shown]
.LBB1_70:                               ;   in Loop: Header=BB1_30 Depth=1
	s_or_b64 exec, exec, s[4:5]
	v_cmp_gt_u32_e64 s[4:5], 8, v14
                                        ; implicit-def: $vgpr26_vgpr27
                                        ; implicit-def: $sgpr14
	s_and_saveexec_b64 s[6:7], s[4:5]
	s_xor_b64 s[6:7], exec, s[6:7]
	s_cbranch_execz .LBB1_76
; %bb.71:                               ;   in Loop: Header=BB1_30 Depth=1
	v_cmp_ne_u32_e64 s[4:5], 0, v14
	v_pk_mov_b32 v[26:27], 0, 0
	s_and_saveexec_b64 s[14:15], s[4:5]
	s_cbranch_execz .LBB1_75
; %bb.72:                               ;   in Loop: Header=BB1_30 Depth=1
	s_mov_b32 s22, 0
	s_mov_b64 s[16:17], 0
	v_pk_mov_b32 v[26:27], 0, 0
	s_mov_b64 s[18:19], 0
.LBB1_73:                               ;   Parent Loop BB1_30 Depth=1
                                        ; =>  This Inner Loop Header: Depth=2
	v_add_u32_e32 v15, s22, v5
	buffer_load_ubyte v15, v15, s[0:3], 0 offen
	v_mov_b32_e32 v29, s20
	s_add_i32 s22, s22, 1
	v_cmp_eq_u32_e64 s[4:5], s22, v14
	s_waitcnt vmcnt(0)
	v_and_b32_e32 v28, 0xffff, v15
	v_lshlrev_b64 v[28:29], s18, v[28:29]
	s_add_u32 s18, s18, 8
	s_addc_u32 s19, s19, 0
	v_or_b32_e32 v27, v29, v27
	s_or_b64 s[16:17], s[4:5], s[16:17]
	v_or_b32_e32 v26, v28, v26
	s_andn2_b64 exec, exec, s[16:17]
	s_cbranch_execnz .LBB1_73
; %bb.74:                               ;   in Loop: Header=BB1_30 Depth=1
	s_or_b64 exec, exec, s[16:17]
.LBB1_75:                               ;   in Loop: Header=BB1_30 Depth=1
	s_or_b64 exec, exec, s[14:15]
	s_mov_b32 s14, 0
                                        ; implicit-def: $vgpr14
.LBB1_76:                               ;   in Loop: Header=BB1_30 Depth=1
	s_or_saveexec_b64 s[4:5], s[6:7]
	v_mov_b32_e32 v15, s14
	s_xor_b64 exec, exec, s[4:5]
	s_cbranch_execz .LBB1_78
; %bb.77:                               ;   in Loop: Header=BB1_30 Depth=1
	buffer_load_dword v26, v5, s[0:3], 0 offen offset:4
	buffer_load_dword v27, v5, s[0:3], 0 offen
	v_add_u32_e32 v15, -8, v14
	v_add_u32_e32 v5, 8, v5
	s_waitcnt vmcnt(1)
	v_and_b32_e32 v14, 0xff, v26
	v_and_b32_e32 v28, 0xff00, v26
	s_waitcnt vmcnt(0)
	v_or3_b32 v27, v27, 0, 0
	v_and_b32_e32 v29, 0xff0000, v26
	v_and_b32_e32 v30, 0xff000000, v26
	v_or3_b32 v14, 0, v14, v28
	v_or3_b32 v26, v27, 0, 0
	;; [unrolled: 1-line block ×3, first 2 shown]
.LBB1_78:                               ;   in Loop: Header=BB1_30 Depth=1
	s_or_b64 exec, exec, s[4:5]
	v_cmp_gt_u32_e64 s[4:5], 8, v15
	s_and_saveexec_b64 s[6:7], s[4:5]
	s_xor_b64 s[6:7], exec, s[6:7]
	s_cbranch_execz .LBB1_84
; %bb.79:                               ;   in Loop: Header=BB1_30 Depth=1
	v_cmp_ne_u32_e64 s[4:5], 0, v15
	v_pk_mov_b32 v[28:29], 0, 0
	s_and_saveexec_b64 s[14:15], s[4:5]
	s_cbranch_execz .LBB1_83
; %bb.80:                               ;   in Loop: Header=BB1_30 Depth=1
	s_mov_b64 s[16:17], 0
	v_pk_mov_b32 v[28:29], 0, 0
	s_mov_b64 s[18:19], 0
.LBB1_81:                               ;   Parent Loop BB1_30 Depth=1
                                        ; =>  This Inner Loop Header: Depth=2
	buffer_load_ubyte v14, v5, s[0:3], 0 offen
	v_mov_b32_e32 v31, s20
	v_add_u32_e32 v15, -1, v15
	v_cmp_eq_u32_e64 s[4:5], 0, v15
	v_add_u32_e32 v5, 1, v5
	s_waitcnt vmcnt(0)
	v_and_b32_e32 v30, 0xffff, v14
	v_lshlrev_b64 v[30:31], s18, v[30:31]
	s_add_u32 s18, s18, 8
	s_addc_u32 s19, s19, 0
	v_or_b32_e32 v29, v31, v29
	s_or_b64 s[16:17], s[4:5], s[16:17]
	v_or_b32_e32 v28, v30, v28
	s_andn2_b64 exec, exec, s[16:17]
	s_cbranch_execnz .LBB1_81
; %bb.82:                               ;   in Loop: Header=BB1_30 Depth=1
	s_or_b64 exec, exec, s[16:17]
.LBB1_83:                               ;   in Loop: Header=BB1_30 Depth=1
	s_or_b64 exec, exec, s[14:15]
                                        ; implicit-def: $vgpr5
.LBB1_84:                               ;   in Loop: Header=BB1_30 Depth=1
	s_andn2_saveexec_b64 s[4:5], s[6:7]
	s_cbranch_execz .LBB1_86
; %bb.85:                               ;   in Loop: Header=BB1_30 Depth=1
	buffer_load_dword v14, v5, s[0:3], 0 offen offset:4
	s_nop 0
	buffer_load_dword v5, v5, s[0:3], 0 offen
	s_waitcnt vmcnt(1)
	v_and_b32_e32 v15, 0xff, v14
	v_and_b32_e32 v28, 0xff00, v14
	s_waitcnt vmcnt(0)
	v_or3_b32 v5, v5, 0, 0
	v_and_b32_e32 v29, 0xff0000, v14
	v_and_b32_e32 v14, 0xff000000, v14
	v_or3_b32 v15, 0, v15, v28
	v_or3_b32 v29, v15, v29, v14
	;; [unrolled: 1-line block ×3, first 2 shown]
.LBB1_86:                               ;   in Loop: Header=BB1_30 Depth=1
	s_or_b64 exec, exec, s[4:5]
	v_readfirstlane_b32 s4, v53
	v_cmp_eq_u32_e64 s[4:5], s4, v53
	v_pk_mov_b32 v[14:15], 0, 0
	s_and_saveexec_b64 s[14:15], s[4:5]
	s_cbranch_execz .LBB1_92
; %bb.87:                               ;   in Loop: Header=BB1_30 Depth=1
	global_load_dwordx2 v[32:33], v39, s[10:11] offset:24 glc
	s_waitcnt vmcnt(0)
	buffer_invl2
	buffer_wbinvl1_vol
	global_load_dwordx2 v[14:15], v39, s[10:11] offset:40
	global_load_dwordx2 v[30:31], v39, s[10:11]
	s_waitcnt vmcnt(1)
	v_and_b32_e32 v5, v14, v32
	v_and_b32_e32 v14, v15, v33
	v_mul_lo_u32 v14, v14, 24
	v_mul_hi_u32 v15, v5, 24
	v_mul_lo_u32 v5, v5, 24
	v_add_u32_e32 v15, v15, v14
	s_waitcnt vmcnt(0)
	v_add_co_u32_e64 v14, s[6:7], v30, v5
	v_addc_co_u32_e64 v15, s[6:7], v31, v15, s[6:7]
	global_load_dwordx2 v[30:31], v[14:15], off glc
	s_waitcnt vmcnt(0)
	global_atomic_cmpswap_x2 v[14:15], v39, v[30:33], s[10:11] offset:24 glc
	s_waitcnt vmcnt(0)
	buffer_invl2
	buffer_wbinvl1_vol
	v_cmp_ne_u64_e64 s[6:7], v[14:15], v[32:33]
	s_and_saveexec_b64 s[16:17], s[6:7]
	s_cbranch_execz .LBB1_91
; %bb.88:                               ;   in Loop: Header=BB1_30 Depth=1
	s_mov_b64 s[18:19], 0
.LBB1_89:                               ;   Parent Loop BB1_30 Depth=1
                                        ; =>  This Inner Loop Header: Depth=2
	s_sleep 1
	global_load_dwordx2 v[30:31], v39, s[10:11] offset:40
	global_load_dwordx2 v[48:49], v39, s[10:11]
	v_pk_mov_b32 v[32:33], v[14:15], v[14:15] op_sel:[0,1]
	s_waitcnt vmcnt(1)
	v_and_b32_e32 v14, v30, v32
	s_waitcnt vmcnt(0)
	v_mad_u64_u32 v[14:15], s[6:7], v14, 24, v[48:49]
	v_and_b32_e32 v5, v31, v33
	v_mov_b32_e32 v30, v15
	v_mad_u64_u32 v[30:31], s[6:7], v5, 24, v[30:31]
	v_mov_b32_e32 v15, v30
	global_load_dwordx2 v[30:31], v[14:15], off glc
	s_waitcnt vmcnt(0)
	global_atomic_cmpswap_x2 v[14:15], v39, v[30:33], s[10:11] offset:24 glc
	s_waitcnt vmcnt(0)
	buffer_invl2
	buffer_wbinvl1_vol
	v_cmp_eq_u64_e64 s[6:7], v[14:15], v[32:33]
	s_or_b64 s[18:19], s[6:7], s[18:19]
	s_andn2_b64 exec, exec, s[18:19]
	s_cbranch_execnz .LBB1_89
; %bb.90:                               ;   in Loop: Header=BB1_30 Depth=1
	s_or_b64 exec, exec, s[18:19]
.LBB1_91:                               ;   in Loop: Header=BB1_30 Depth=1
	s_or_b64 exec, exec, s[16:17]
.LBB1_92:                               ;   in Loop: Header=BB1_30 Depth=1
	s_or_b64 exec, exec, s[14:15]
	global_load_dwordx2 v[48:49], v39, s[10:11] offset:40
	global_load_dwordx4 v[30:33], v39, s[10:11]
	v_readfirstlane_b32 s14, v14
	v_readfirstlane_b32 s15, v15
	s_mov_b64 s[16:17], exec
	s_waitcnt vmcnt(1)
	v_readfirstlane_b32 s6, v48
	v_readfirstlane_b32 s7, v49
	s_and_b64 s[18:19], s[14:15], s[6:7]
	s_mul_i32 s6, s19, 24
	s_mul_hi_u32 s7, s18, 24
	s_mul_i32 s22, s18, 24
	s_add_i32 s6, s7, s6
	v_mov_b32_e32 v5, s6
	s_waitcnt vmcnt(0)
	v_add_co_u32_e64 v48, s[6:7], s22, v30
	v_addc_co_u32_e64 v49, s[6:7], v31, v5, s[6:7]
	s_and_saveexec_b64 s[6:7], s[4:5]
	s_cbranch_execz .LBB1_94
; %bb.93:                               ;   in Loop: Header=BB1_30 Depth=1
	v_pk_mov_b32 v[14:15], s[16:17], s[16:17] op_sel:[0,1]
	global_store_dwordx4 v[48:49], v[14:17], off offset:8
.LBB1_94:                               ;   in Loop: Header=BB1_30 Depth=1
	s_or_b64 exec, exec, s[6:7]
	s_lshl_b64 s[6:7], s[18:19], 12
	v_cndmask_b32_e32 v15, 0, v1, vcc
	v_mov_b32_e32 v5, s7
	v_add_co_u32_e32 v14, vcc, s6, v32
	v_addc_co_u32_e32 v5, vcc, v33, v5, vcc
	v_or_b32_e32 v32, 0, v9
	v_cmp_lt_u64_e32 vcc, 56, v[0:1]
	v_or_b32_e32 v33, v8, v36
	v_cndmask_b32_e32 v9, v32, v9, vcc
	v_lshl_add_u32 v32, v50, 2, 28
	v_cndmask_b32_e32 v8, v33, v8, vcc
	v_and_b32_e32 v32, 0x1e0, v32
	v_and_or_b32 v8, v8, s21, v32
	v_readfirstlane_b32 s6, v14
	v_readfirstlane_b32 s7, v5
	s_nop 4
	global_store_dwordx4 v52, v[8:11], s[6:7]
	global_store_dwordx4 v52, v[18:21], s[6:7] offset:16
	global_store_dwordx4 v52, v[22:25], s[6:7] offset:32
	;; [unrolled: 1-line block ×3, first 2 shown]
	s_and_saveexec_b64 s[6:7], s[4:5]
	s_cbranch_execz .LBB1_102
; %bb.95:                               ;   in Loop: Header=BB1_30 Depth=1
	global_load_dwordx2 v[22:23], v39, s[10:11] offset:32 glc
	global_load_dwordx2 v[8:9], v39, s[10:11] offset:40
	v_mov_b32_e32 v20, s14
	v_mov_b32_e32 v21, s15
	s_waitcnt vmcnt(0)
	v_readfirstlane_b32 s16, v8
	v_readfirstlane_b32 s17, v9
	s_and_b64 s[16:17], s[16:17], s[14:15]
	s_mul_i32 s17, s17, 24
	s_mul_hi_u32 s18, s16, 24
	s_mul_i32 s16, s16, 24
	s_add_i32 s17, s18, s17
	v_mov_b32_e32 v8, s17
	v_add_co_u32_e32 v18, vcc, s16, v30
	v_addc_co_u32_e32 v19, vcc, v31, v8, vcc
	global_store_dwordx2 v[18:19], v[22:23], off
	buffer_wbl2
	s_waitcnt vmcnt(0)
	global_atomic_cmpswap_x2 v[10:11], v39, v[20:23], s[10:11] offset:32 glc
	s_waitcnt vmcnt(0)
	v_cmp_ne_u64_e32 vcc, v[10:11], v[22:23]
	s_and_saveexec_b64 s[16:17], vcc
	s_cbranch_execz .LBB1_98
; %bb.96:                               ;   in Loop: Header=BB1_30 Depth=1
	s_mov_b64 s[18:19], 0
.LBB1_97:                               ;   Parent Loop BB1_30 Depth=1
                                        ; =>  This Inner Loop Header: Depth=2
	s_sleep 1
	global_store_dwordx2 v[18:19], v[10:11], off
	v_mov_b32_e32 v8, s14
	v_mov_b32_e32 v9, s15
	buffer_wbl2
	s_waitcnt vmcnt(0)
	global_atomic_cmpswap_x2 v[8:9], v39, v[8:11], s[10:11] offset:32 glc
	s_waitcnt vmcnt(0)
	v_cmp_eq_u64_e32 vcc, v[8:9], v[10:11]
	s_or_b64 s[18:19], vcc, s[18:19]
	v_pk_mov_b32 v[10:11], v[8:9], v[8:9] op_sel:[0,1]
	s_andn2_b64 exec, exec, s[18:19]
	s_cbranch_execnz .LBB1_97
.LBB1_98:                               ;   in Loop: Header=BB1_30 Depth=1
	s_or_b64 exec, exec, s[16:17]
	global_load_dwordx2 v[8:9], v39, s[10:11] offset:16
	s_mov_b64 s[18:19], exec
	v_mbcnt_lo_u32_b32 v10, s18, 0
	v_mbcnt_hi_u32_b32 v10, s19, v10
	v_cmp_eq_u32_e32 vcc, 0, v10
	s_and_saveexec_b64 s[16:17], vcc
	s_cbranch_execz .LBB1_100
; %bb.99:                               ;   in Loop: Header=BB1_30 Depth=1
	s_bcnt1_i32_b64 s18, s[18:19]
	v_mov_b32_e32 v38, s18
	buffer_wbl2
	s_waitcnt vmcnt(0)
	global_atomic_add_x2 v[8:9], v[38:39], off offset:8
.LBB1_100:                              ;   in Loop: Header=BB1_30 Depth=1
	s_or_b64 exec, exec, s[16:17]
	s_waitcnt vmcnt(0)
	global_load_dwordx2 v[10:11], v[8:9], off offset:16
	s_waitcnt vmcnt(0)
	v_cmp_eq_u64_e32 vcc, 0, v[10:11]
	s_cbranch_vccnz .LBB1_102
; %bb.101:                              ;   in Loop: Header=BB1_30 Depth=1
	global_load_dword v38, v[8:9], off offset:24
	s_waitcnt vmcnt(0)
	v_and_b32_e32 v8, 0xffffff, v38
	v_readfirstlane_b32 m0, v8
	buffer_wbl2
	global_store_dwordx2 v[10:11], v[38:39], off
	s_sendmsg sendmsg(MSG_INTERRUPT)
.LBB1_102:                              ;   in Loop: Header=BB1_30 Depth=1
	s_or_b64 exec, exec, s[6:7]
	v_add_co_u32_e32 v8, vcc, v14, v52
	v_addc_co_u32_e32 v9, vcc, 0, v5, vcc
	s_branch .LBB1_106
.LBB1_103:                              ;   in Loop: Header=BB1_106 Depth=2
	s_or_b64 exec, exec, s[6:7]
	v_readfirstlane_b32 s6, v5
	s_cmp_eq_u32 s6, 0
	s_cbranch_scc1 .LBB1_105
; %bb.104:                              ;   in Loop: Header=BB1_106 Depth=2
	s_sleep 1
	s_cbranch_execnz .LBB1_106
	s_branch .LBB1_108
.LBB1_105:                              ;   in Loop: Header=BB1_30 Depth=1
	s_branch .LBB1_108
.LBB1_106:                              ;   Parent Loop BB1_30 Depth=1
                                        ; =>  This Inner Loop Header: Depth=2
	v_mov_b32_e32 v5, 1
	s_and_saveexec_b64 s[6:7], s[4:5]
	s_cbranch_execz .LBB1_103
; %bb.107:                              ;   in Loop: Header=BB1_106 Depth=2
	global_load_dword v5, v[48:49], off offset:20 glc
	s_waitcnt vmcnt(0)
	buffer_invl2
	buffer_wbinvl1_vol
	v_and_b32_e32 v5, 1, v5
	s_branch .LBB1_103
.LBB1_108:                              ;   in Loop: Header=BB1_30 Depth=1
	global_load_dwordx4 v[8:11], v[8:9], off
	s_and_saveexec_b64 s[6:7], s[4:5]
	s_cbranch_execz .LBB1_29
; %bb.109:                              ;   in Loop: Header=BB1_30 Depth=1
	global_load_dwordx2 v[10:11], v39, s[10:11] offset:40
	global_load_dwordx2 v[22:23], v39, s[10:11] offset:24 glc
	global_load_dwordx2 v[24:25], v39, s[10:11]
	v_mov_b32_e32 v5, s15
	s_waitcnt vmcnt(2)
	v_add_co_u32_e32 v14, vcc, 1, v10
	v_addc_co_u32_e32 v21, vcc, 0, v11, vcc
	v_add_co_u32_e32 v18, vcc, s14, v14
	v_addc_co_u32_e32 v19, vcc, v21, v5, vcc
	v_cmp_eq_u64_e32 vcc, 0, v[18:19]
	v_cndmask_b32_e32 v19, v19, v21, vcc
	v_cndmask_b32_e32 v18, v18, v14, vcc
	v_and_b32_e32 v5, v19, v11
	v_and_b32_e32 v10, v18, v10
	v_mul_lo_u32 v5, v5, 24
	v_mul_hi_u32 v11, v10, 24
	v_mul_lo_u32 v10, v10, 24
	v_add_u32_e32 v5, v11, v5
	s_waitcnt vmcnt(0)
	v_add_co_u32_e32 v10, vcc, v24, v10
	v_addc_co_u32_e32 v11, vcc, v25, v5, vcc
	v_mov_b32_e32 v20, v22
	global_store_dwordx2 v[10:11], v[22:23], off
	v_mov_b32_e32 v21, v23
	buffer_wbl2
	s_waitcnt vmcnt(0)
	global_atomic_cmpswap_x2 v[20:21], v39, v[18:21], s[10:11] offset:24 glc
	s_waitcnt vmcnt(0)
	v_cmp_ne_u64_e32 vcc, v[20:21], v[22:23]
	s_and_b64 exec, exec, vcc
	s_cbranch_execz .LBB1_29
; %bb.110:                              ;   in Loop: Header=BB1_30 Depth=1
	s_mov_b64 s[4:5], 0
.LBB1_111:                              ;   Parent Loop BB1_30 Depth=1
                                        ; =>  This Inner Loop Header: Depth=2
	s_sleep 1
	global_store_dwordx2 v[10:11], v[20:21], off
	buffer_wbl2
	s_waitcnt vmcnt(0)
	global_atomic_cmpswap_x2 v[22:23], v39, v[18:21], s[10:11] offset:24 glc
	s_waitcnt vmcnt(0)
	v_cmp_eq_u64_e32 vcc, v[22:23], v[20:21]
	s_or_b64 s[4:5], vcc, s[4:5]
	v_pk_mov_b32 v[20:21], v[22:23], v[22:23] op_sel:[0,1]
	s_andn2_b64 exec, exec, s[4:5]
	s_cbranch_execnz .LBB1_111
	s_branch .LBB1_29
.LBB1_112:
                                        ; implicit-def: $vgpr8_vgpr9
	s_cbranch_execnz .LBB1_114
	s_branch .LBB1_140
.LBB1_113:
	s_or_b64 exec, exec, s[12:13]
	s_branch .LBB1_140
.LBB1_114:
	v_readfirstlane_b32 s4, v53
	v_cmp_eq_u32_e64 s[4:5], s4, v53
	v_pk_mov_b32 v[0:1], 0, 0
	s_and_saveexec_b64 s[6:7], s[4:5]
	s_cbranch_execz .LBB1_120
; %bb.115:
	v_mov_b32_e32 v5, 0
	global_load_dwordx2 v[10:11], v5, s[10:11] offset:24 glc
	s_waitcnt vmcnt(0)
	buffer_invl2
	buffer_wbinvl1_vol
	global_load_dwordx2 v[0:1], v5, s[10:11] offset:40
	global_load_dwordx2 v[8:9], v5, s[10:11]
	s_waitcnt vmcnt(1)
	v_and_b32_e32 v0, v0, v10
	v_and_b32_e32 v1, v1, v11
	v_mul_lo_u32 v1, v1, 24
	v_mul_hi_u32 v14, v0, 24
	v_mul_lo_u32 v0, v0, 24
	v_add_u32_e32 v1, v14, v1
	s_waitcnt vmcnt(0)
	v_add_co_u32_e32 v0, vcc, v8, v0
	v_addc_co_u32_e32 v1, vcc, v9, v1, vcc
	global_load_dwordx2 v[8:9], v[0:1], off glc
	s_waitcnt vmcnt(0)
	global_atomic_cmpswap_x2 v[0:1], v5, v[8:11], s[10:11] offset:24 glc
	s_waitcnt vmcnt(0)
	buffer_invl2
	buffer_wbinvl1_vol
	v_cmp_ne_u64_e32 vcc, v[0:1], v[10:11]
	s_and_saveexec_b64 s[12:13], vcc
	s_cbranch_execz .LBB1_119
; %bb.116:
	s_mov_b64 s[14:15], 0
.LBB1_117:                              ; =>This Inner Loop Header: Depth=1
	s_sleep 1
	global_load_dwordx2 v[8:9], v5, s[10:11] offset:40
	global_load_dwordx2 v[14:15], v5, s[10:11]
	v_pk_mov_b32 v[10:11], v[0:1], v[0:1] op_sel:[0,1]
	s_waitcnt vmcnt(1)
	v_and_b32_e32 v0, v8, v10
	s_waitcnt vmcnt(0)
	v_mad_u64_u32 v[0:1], s[16:17], v0, 24, v[14:15]
	v_and_b32_e32 v9, v9, v11
	v_mov_b32_e32 v8, v1
	v_mad_u64_u32 v[8:9], s[16:17], v9, 24, v[8:9]
	v_mov_b32_e32 v1, v8
	global_load_dwordx2 v[8:9], v[0:1], off glc
	s_waitcnt vmcnt(0)
	global_atomic_cmpswap_x2 v[0:1], v5, v[8:11], s[10:11] offset:24 glc
	s_waitcnt vmcnt(0)
	buffer_invl2
	buffer_wbinvl1_vol
	v_cmp_eq_u64_e32 vcc, v[0:1], v[10:11]
	s_or_b64 s[14:15], vcc, s[14:15]
	s_andn2_b64 exec, exec, s[14:15]
	s_cbranch_execnz .LBB1_117
; %bb.118:
	s_or_b64 exec, exec, s[14:15]
.LBB1_119:
	s_or_b64 exec, exec, s[12:13]
.LBB1_120:
	s_or_b64 exec, exec, s[6:7]
	v_mov_b32_e32 v14, 0
	global_load_dwordx2 v[16:17], v14, s[10:11] offset:40
	global_load_dwordx4 v[8:11], v14, s[10:11]
	v_readfirstlane_b32 s6, v0
	v_readfirstlane_b32 s7, v1
	s_mov_b64 s[12:13], exec
	s_waitcnt vmcnt(1)
	v_readfirstlane_b32 s14, v16
	v_readfirstlane_b32 s15, v17
	s_and_b64 s[14:15], s[6:7], s[14:15]
	s_mul_i32 s16, s15, 24
	s_mul_hi_u32 s17, s14, 24
	s_mul_i32 s18, s14, 24
	s_add_i32 s16, s17, s16
	v_mov_b32_e32 v1, s16
	s_waitcnt vmcnt(0)
	v_add_co_u32_e32 v0, vcc, s18, v8
	v_addc_co_u32_e32 v1, vcc, v9, v1, vcc
	s_and_saveexec_b64 s[16:17], s[4:5]
	s_cbranch_execz .LBB1_122
; %bb.121:
	v_pk_mov_b32 v[16:17], s[12:13], s[12:13] op_sel:[0,1]
	v_mov_b32_e32 v18, 2
	v_mov_b32_e32 v19, 1
	global_store_dwordx4 v[0:1], v[16:19], off offset:8
.LBB1_122:
	s_or_b64 exec, exec, s[16:17]
	s_lshl_b64 s[12:13], s[14:15], 12
	v_mov_b32_e32 v5, s13
	v_add_co_u32_e32 v10, vcc, s12, v10
	s_movk_i32 s12, 0xff1f
	v_addc_co_u32_e32 v5, vcc, v11, v5, vcc
	v_and_or_b32 v12, v12, s12, 32
	s_mov_b32 s12, 0
	v_mov_b32_e32 v15, v14
	v_readfirstlane_b32 s16, v10
	v_readfirstlane_b32 s17, v5
	s_mov_b32 s13, s12
	v_add_co_u32_e32 v16, vcc, v10, v52
	s_mov_b32 s14, s12
	s_mov_b32 s15, s12
	s_nop 0
	global_store_dwordx4 v52, v[12:15], s[16:17]
	v_pk_mov_b32 v[10:11], s[12:13], s[12:13] op_sel:[0,1]
	v_addc_co_u32_e32 v17, vcc, 0, v5, vcc
	v_pk_mov_b32 v[12:13], s[14:15], s[14:15] op_sel:[0,1]
	global_store_dwordx4 v52, v[10:13], s[16:17] offset:16
	global_store_dwordx4 v52, v[10:13], s[16:17] offset:32
	;; [unrolled: 1-line block ×3, first 2 shown]
	s_and_saveexec_b64 s[12:13], s[4:5]
	s_cbranch_execz .LBB1_130
; %bb.123:
	v_mov_b32_e32 v5, 0
	global_load_dwordx2 v[20:21], v5, s[10:11] offset:32 glc
	global_load_dwordx2 v[10:11], v5, s[10:11] offset:40
	v_mov_b32_e32 v18, s6
	v_mov_b32_e32 v19, s7
	s_waitcnt vmcnt(0)
	v_readfirstlane_b32 s14, v10
	v_readfirstlane_b32 s15, v11
	s_and_b64 s[14:15], s[14:15], s[6:7]
	s_mul_i32 s15, s15, 24
	s_mul_hi_u32 s16, s14, 24
	s_mul_i32 s14, s14, 24
	s_add_i32 s15, s16, s15
	v_mov_b32_e32 v10, s15
	v_add_co_u32_e32 v12, vcc, s14, v8
	v_addc_co_u32_e32 v13, vcc, v9, v10, vcc
	global_store_dwordx2 v[12:13], v[20:21], off
	buffer_wbl2
	s_waitcnt vmcnt(0)
	global_atomic_cmpswap_x2 v[10:11], v5, v[18:21], s[10:11] offset:32 glc
	s_waitcnt vmcnt(0)
	v_cmp_ne_u64_e32 vcc, v[10:11], v[20:21]
	s_and_saveexec_b64 s[14:15], vcc
	s_cbranch_execz .LBB1_126
; %bb.124:
	s_mov_b64 s[16:17], 0
.LBB1_125:                              ; =>This Inner Loop Header: Depth=1
	s_sleep 1
	global_store_dwordx2 v[12:13], v[10:11], off
	v_mov_b32_e32 v8, s6
	v_mov_b32_e32 v9, s7
	buffer_wbl2
	s_waitcnt vmcnt(0)
	global_atomic_cmpswap_x2 v[8:9], v5, v[8:11], s[10:11] offset:32 glc
	s_waitcnt vmcnt(0)
	v_cmp_eq_u64_e32 vcc, v[8:9], v[10:11]
	s_or_b64 s[16:17], vcc, s[16:17]
	v_pk_mov_b32 v[10:11], v[8:9], v[8:9] op_sel:[0,1]
	s_andn2_b64 exec, exec, s[16:17]
	s_cbranch_execnz .LBB1_125
.LBB1_126:
	s_or_b64 exec, exec, s[14:15]
	v_mov_b32_e32 v11, 0
	global_load_dwordx2 v[8:9], v11, s[10:11] offset:16
	s_mov_b64 s[14:15], exec
	v_mbcnt_lo_u32_b32 v5, s14, 0
	v_mbcnt_hi_u32_b32 v5, s15, v5
	v_cmp_eq_u32_e32 vcc, 0, v5
	s_and_saveexec_b64 s[16:17], vcc
	s_cbranch_execz .LBB1_128
; %bb.127:
	s_bcnt1_i32_b64 s14, s[14:15]
	v_mov_b32_e32 v10, s14
	buffer_wbl2
	s_waitcnt vmcnt(0)
	global_atomic_add_x2 v[8:9], v[10:11], off offset:8
.LBB1_128:
	s_or_b64 exec, exec, s[16:17]
	s_waitcnt vmcnt(0)
	global_load_dwordx2 v[10:11], v[8:9], off offset:16
	s_waitcnt vmcnt(0)
	v_cmp_eq_u64_e32 vcc, 0, v[10:11]
	s_cbranch_vccnz .LBB1_130
; %bb.129:
	global_load_dword v8, v[8:9], off offset:24
	v_mov_b32_e32 v9, 0
	s_waitcnt vmcnt(0)
	v_and_b32_e32 v5, 0xffffff, v8
	v_readfirstlane_b32 m0, v5
	buffer_wbl2
	global_store_dwordx2 v[10:11], v[8:9], off
	s_sendmsg sendmsg(MSG_INTERRUPT)
.LBB1_130:
	s_or_b64 exec, exec, s[12:13]
	s_branch .LBB1_134
.LBB1_131:                              ;   in Loop: Header=BB1_134 Depth=1
	s_or_b64 exec, exec, s[12:13]
	v_readfirstlane_b32 s12, v5
	s_cmp_eq_u32 s12, 0
	s_cbranch_scc1 .LBB1_133
; %bb.132:                              ;   in Loop: Header=BB1_134 Depth=1
	s_sleep 1
	s_cbranch_execnz .LBB1_134
	s_branch .LBB1_136
.LBB1_133:
	s_branch .LBB1_136
.LBB1_134:                              ; =>This Inner Loop Header: Depth=1
	v_mov_b32_e32 v5, 1
	s_and_saveexec_b64 s[12:13], s[4:5]
	s_cbranch_execz .LBB1_131
; %bb.135:                              ;   in Loop: Header=BB1_134 Depth=1
	global_load_dword v5, v[0:1], off offset:20 glc
	s_waitcnt vmcnt(0)
	buffer_invl2
	buffer_wbinvl1_vol
	v_and_b32_e32 v5, 1, v5
	s_branch .LBB1_131
.LBB1_136:
	global_load_dwordx2 v[8:9], v[16:17], off
	s_and_saveexec_b64 s[12:13], s[4:5]
	s_cbranch_execz .LBB1_139
; %bb.137:
	v_mov_b32_e32 v5, 0
	global_load_dwordx2 v[0:1], v5, s[10:11] offset:40
	global_load_dwordx2 v[14:15], v5, s[10:11] offset:24 glc
	global_load_dwordx2 v[16:17], v5, s[10:11]
	v_mov_b32_e32 v11, s7
	s_mov_b64 s[4:5], 0
	s_waitcnt vmcnt(2)
	v_add_co_u32_e32 v13, vcc, 1, v0
	v_addc_co_u32_e32 v18, vcc, 0, v1, vcc
	v_add_co_u32_e32 v10, vcc, s6, v13
	v_addc_co_u32_e32 v11, vcc, v18, v11, vcc
	v_cmp_eq_u64_e32 vcc, 0, v[10:11]
	v_cndmask_b32_e32 v11, v11, v18, vcc
	v_cndmask_b32_e32 v10, v10, v13, vcc
	v_and_b32_e32 v1, v11, v1
	v_and_b32_e32 v0, v10, v0
	v_mul_lo_u32 v1, v1, 24
	v_mul_hi_u32 v13, v0, 24
	v_mul_lo_u32 v0, v0, 24
	v_add_u32_e32 v1, v13, v1
	s_waitcnt vmcnt(0)
	v_add_co_u32_e32 v0, vcc, v16, v0
	v_addc_co_u32_e32 v1, vcc, v17, v1, vcc
	v_mov_b32_e32 v12, v14
	global_store_dwordx2 v[0:1], v[14:15], off
	v_mov_b32_e32 v13, v15
	buffer_wbl2
	s_waitcnt vmcnt(0)
	global_atomic_cmpswap_x2 v[12:13], v5, v[10:13], s[10:11] offset:24 glc
	s_waitcnt vmcnt(0)
	v_cmp_ne_u64_e32 vcc, v[12:13], v[14:15]
	s_and_b64 exec, exec, vcc
	s_cbranch_execz .LBB1_139
.LBB1_138:                              ; =>This Inner Loop Header: Depth=1
	s_sleep 1
	global_store_dwordx2 v[0:1], v[12:13], off
	buffer_wbl2
	s_waitcnt vmcnt(0)
	global_atomic_cmpswap_x2 v[14:15], v5, v[10:13], s[10:11] offset:24 glc
	s_waitcnt vmcnt(0)
	v_cmp_eq_u64_e32 vcc, v[14:15], v[12:13]
	s_or_b64 s[4:5], vcc, s[4:5]
	v_pk_mov_b32 v[12:13], v[14:15], v[14:15] op_sel:[0,1]
	s_andn2_b64 exec, exec, s[4:5]
	s_cbranch_execnz .LBB1_138
.LBB1_139:
	s_or_b64 exec, exec, s[12:13]
.LBB1_140:
	s_mov_b64 s[4:5], 0
	s_waitcnt vmcnt(0)
	v_pk_mov_b32 v[10:11], v[2:3], v[2:3] op_sel:[0,1]
.LBB1_141:                              ; =>This Inner Loop Header: Depth=1
	flat_load_ubyte v5, v[10:11]
	v_add_co_u32_e32 v0, vcc, 1, v10
	v_addc_co_u32_e32 v1, vcc, 0, v11, vcc
	v_pk_mov_b32 v[10:11], v[0:1], v[0:1] op_sel:[0,1]
	s_waitcnt vmcnt(0) lgkmcnt(0)
	v_cmp_eq_u16_e32 vcc, 0, v5
	s_or_b64 s[4:5], vcc, s[4:5]
	s_andn2_b64 exec, exec, s[4:5]
	s_cbranch_execnz .LBB1_141
; %bb.142:
	s_or_b64 exec, exec, s[4:5]
	s_mov_b64 s[6:7], 0
	v_cmp_ne_u64_e32 vcc, 0, v[2:3]
	s_and_saveexec_b64 s[4:5], vcc
	s_xor_b64 s[12:13], exec, s[4:5]
	s_cbranch_execz .LBB1_228
; %bb.143:
	v_sub_u32_e32 v0, v0, v2
	v_ashrrev_i32_e32 v1, 31, v0
	v_and_b32_e32 v36, 2, v8
	v_mov_b32_e32 v39, 0
	v_and_b32_e32 v8, -3, v8
	s_mov_b32 s22, 0
	s_movk_i32 s23, 0xff1f
	v_mov_b32_e32 v12, 2
	v_mov_b32_e32 v13, 1
	s_branch .LBB1_145
.LBB1_144:                              ;   in Loop: Header=BB1_145 Depth=1
	s_or_b64 exec, exec, s[16:17]
	v_sub_co_u32_e32 v0, vcc, v0, v48
	v_subb_co_u32_e32 v1, vcc, v1, v49, vcc
	v_cmp_eq_u64_e32 vcc, 0, v[0:1]
	s_or_b64 s[6:7], vcc, s[6:7]
	v_add_co_u32_e32 v2, vcc, v2, v48
	v_addc_co_u32_e32 v3, vcc, v3, v49, vcc
	s_andn2_b64 exec, exec, s[6:7]
	s_cbranch_execz .LBB1_227
.LBB1_145:                              ; =>This Loop Header: Depth=1
                                        ;     Child Loop BB1_148 Depth 2
                                        ;     Child Loop BB1_156 Depth 2
	;; [unrolled: 1-line block ×11, first 2 shown]
	v_cmp_gt_u64_e32 vcc, 56, v[0:1]
	v_cndmask_b32_e32 v49, 0, v1, vcc
	v_cndmask_b32_e32 v48, 56, v0, vcc
	v_cmp_gt_u64_e32 vcc, 8, v[0:1]
                                        ; implicit-def: $vgpr16_vgpr17
                                        ; implicit-def: $sgpr14
	s_and_saveexec_b64 s[4:5], vcc
	s_xor_b64 s[4:5], exec, s[4:5]
	s_cbranch_execz .LBB1_151
; %bb.146:                              ;   in Loop: Header=BB1_145 Depth=1
	s_mov_b64 s[16:17], 0
	v_cmp_ne_u64_e32 vcc, 0, v[0:1]
	v_pk_mov_b32 v[16:17], 0, 0
	s_and_saveexec_b64 s[14:15], vcc
	s_cbranch_execz .LBB1_150
; %bb.147:                              ;   in Loop: Header=BB1_145 Depth=1
	s_waitcnt vmcnt(0)
	v_lshlrev_b64 v[10:11], 3, v[48:49]
	v_pk_mov_b32 v[16:17], 0, 0
	v_pk_mov_b32 v[14:15], v[2:3], v[2:3] op_sel:[0,1]
	s_mov_b64 s[18:19], 0
.LBB1_148:                              ;   Parent Loop BB1_145 Depth=1
                                        ; =>  This Inner Loop Header: Depth=2
	flat_load_ubyte v5, v[14:15]
	v_mov_b32_e32 v19, s22
	v_add_co_u32_e32 v14, vcc, 1, v14
	v_addc_co_u32_e32 v15, vcc, 0, v15, vcc
	s_waitcnt vmcnt(0) lgkmcnt(0)
	v_and_b32_e32 v18, 0xffff, v5
	v_lshlrev_b64 v[18:19], s18, v[18:19]
	s_add_u32 s18, s18, 8
	s_addc_u32 s19, s19, 0
	v_cmp_eq_u32_e32 vcc, s18, v10
	v_or_b32_e32 v17, v19, v17
	s_or_b64 s[16:17], vcc, s[16:17]
	v_or_b32_e32 v16, v18, v16
	s_andn2_b64 exec, exec, s[16:17]
	s_cbranch_execnz .LBB1_148
; %bb.149:                              ;   in Loop: Header=BB1_145 Depth=1
	s_or_b64 exec, exec, s[16:17]
.LBB1_150:                              ;   in Loop: Header=BB1_145 Depth=1
	s_or_b64 exec, exec, s[14:15]
	s_mov_b32 s14, 0
.LBB1_151:                              ;   in Loop: Header=BB1_145 Depth=1
	s_or_saveexec_b64 s[4:5], s[4:5]
	v_mov_b32_e32 v5, s14
	s_waitcnt vmcnt(0)
	v_pk_mov_b32 v[10:11], v[2:3], v[2:3] op_sel:[0,1]
	s_xor_b64 exec, exec, s[4:5]
	s_cbranch_execz .LBB1_153
; %bb.152:                              ;   in Loop: Header=BB1_145 Depth=1
	flat_load_dwordx2 v[10:11], v[2:3]
	v_add_u32_e32 v5, -8, v48
	s_waitcnt vmcnt(0) lgkmcnt(0)
	v_and_b32_e32 v14, 0xff, v11
	v_and_b32_e32 v15, 0xff00, v11
	v_and_b32_e32 v17, 0xff0000, v11
	v_and_b32_e32 v11, 0xff000000, v11
	v_or3_b32 v16, v10, 0, 0
	v_or_b32_e32 v10, v14, v15
	v_or3_b32 v17, v10, v17, v11
	v_add_co_u32_e32 v10, vcc, 8, v2
	v_addc_co_u32_e32 v11, vcc, 0, v3, vcc
.LBB1_153:                              ;   in Loop: Header=BB1_145 Depth=1
	s_or_b64 exec, exec, s[4:5]
	v_cmp_gt_u32_e32 vcc, 8, v5
                                        ; implicit-def: $vgpr18_vgpr19
                                        ; implicit-def: $sgpr14
	s_and_saveexec_b64 s[4:5], vcc
	s_xor_b64 s[4:5], exec, s[4:5]
	s_cbranch_execz .LBB1_159
; %bb.154:                              ;   in Loop: Header=BB1_145 Depth=1
	v_cmp_ne_u32_e32 vcc, 0, v5
	v_pk_mov_b32 v[18:19], 0, 0
	s_and_saveexec_b64 s[14:15], vcc
	s_cbranch_execz .LBB1_158
; %bb.155:                              ;   in Loop: Header=BB1_145 Depth=1
	s_mov_b64 s[16:17], 0
	v_pk_mov_b32 v[18:19], 0, 0
	s_mov_b64 s[18:19], 0
	s_mov_b64 s[20:21], 0
.LBB1_156:                              ;   Parent Loop BB1_145 Depth=1
                                        ; =>  This Inner Loop Header: Depth=2
	v_mov_b32_e32 v15, s21
	v_add_co_u32_e32 v14, vcc, s20, v10
	v_addc_co_u32_e32 v15, vcc, v11, v15, vcc
	flat_load_ubyte v14, v[14:15]
	s_add_u32 s20, s20, 1
	v_mov_b32_e32 v15, s22
	s_addc_u32 s21, s21, 0
	v_cmp_eq_u32_e32 vcc, s20, v5
	s_waitcnt vmcnt(0) lgkmcnt(0)
	v_and_b32_e32 v14, 0xffff, v14
	v_lshlrev_b64 v[14:15], s18, v[14:15]
	s_add_u32 s18, s18, 8
	s_addc_u32 s19, s19, 0
	v_or_b32_e32 v19, v15, v19
	s_or_b64 s[16:17], vcc, s[16:17]
	v_or_b32_e32 v18, v14, v18
	s_andn2_b64 exec, exec, s[16:17]
	s_cbranch_execnz .LBB1_156
; %bb.157:                              ;   in Loop: Header=BB1_145 Depth=1
	s_or_b64 exec, exec, s[16:17]
.LBB1_158:                              ;   in Loop: Header=BB1_145 Depth=1
	s_or_b64 exec, exec, s[14:15]
	s_mov_b32 s14, 0
                                        ; implicit-def: $vgpr5
.LBB1_159:                              ;   in Loop: Header=BB1_145 Depth=1
	s_or_saveexec_b64 s[4:5], s[4:5]
	v_mov_b32_e32 v14, s14
	s_xor_b64 exec, exec, s[4:5]
	s_cbranch_execz .LBB1_161
; %bb.160:                              ;   in Loop: Header=BB1_145 Depth=1
	flat_load_dwordx2 v[18:19], v[10:11]
	v_add_u32_e32 v14, -8, v5
	v_add_co_u32_e32 v10, vcc, 8, v10
	v_addc_co_u32_e32 v11, vcc, 0, v11, vcc
	s_waitcnt vmcnt(0) lgkmcnt(0)
	v_and_b32_e32 v5, 0xff, v19
	v_and_b32_e32 v15, 0xff00, v19
	v_and_b32_e32 v20, 0xff0000, v19
	v_and_b32_e32 v19, 0xff000000, v19
	v_or_b32_e32 v5, v5, v15
	v_or3_b32 v18, v18, 0, 0
	v_or3_b32 v19, v5, v20, v19
.LBB1_161:                              ;   in Loop: Header=BB1_145 Depth=1
	s_or_b64 exec, exec, s[4:5]
	v_cmp_gt_u32_e32 vcc, 8, v14
                                        ; implicit-def: $sgpr14
	s_and_saveexec_b64 s[4:5], vcc
	s_xor_b64 s[4:5], exec, s[4:5]
	s_cbranch_execz .LBB1_167
; %bb.162:                              ;   in Loop: Header=BB1_145 Depth=1
	v_cmp_ne_u32_e32 vcc, 0, v14
	v_pk_mov_b32 v[20:21], 0, 0
	s_and_saveexec_b64 s[14:15], vcc
	s_cbranch_execz .LBB1_166
; %bb.163:                              ;   in Loop: Header=BB1_145 Depth=1
	s_mov_b64 s[16:17], 0
	v_pk_mov_b32 v[20:21], 0, 0
	s_mov_b64 s[18:19], 0
	s_mov_b64 s[20:21], 0
.LBB1_164:                              ;   Parent Loop BB1_145 Depth=1
                                        ; =>  This Inner Loop Header: Depth=2
	v_mov_b32_e32 v5, s21
	v_add_co_u32_e32 v22, vcc, s20, v10
	v_addc_co_u32_e32 v23, vcc, v11, v5, vcc
	flat_load_ubyte v5, v[22:23]
	s_add_u32 s20, s20, 1
	v_mov_b32_e32 v23, s22
	s_addc_u32 s21, s21, 0
	v_cmp_eq_u32_e32 vcc, s20, v14
	s_waitcnt vmcnt(0) lgkmcnt(0)
	v_and_b32_e32 v22, 0xffff, v5
	v_lshlrev_b64 v[22:23], s18, v[22:23]
	s_add_u32 s18, s18, 8
	s_addc_u32 s19, s19, 0
	v_or_b32_e32 v21, v23, v21
	s_or_b64 s[16:17], vcc, s[16:17]
	v_or_b32_e32 v20, v22, v20
	s_andn2_b64 exec, exec, s[16:17]
	s_cbranch_execnz .LBB1_164
; %bb.165:                              ;   in Loop: Header=BB1_145 Depth=1
	s_or_b64 exec, exec, s[16:17]
.LBB1_166:                              ;   in Loop: Header=BB1_145 Depth=1
	s_or_b64 exec, exec, s[14:15]
	s_mov_b32 s14, 0
                                        ; implicit-def: $vgpr14
.LBB1_167:                              ;   in Loop: Header=BB1_145 Depth=1
	s_or_saveexec_b64 s[4:5], s[4:5]
	v_mov_b32_e32 v5, s14
	s_xor_b64 exec, exec, s[4:5]
	s_cbranch_execz .LBB1_169
; %bb.168:                              ;   in Loop: Header=BB1_145 Depth=1
	flat_load_dwordx2 v[20:21], v[10:11]
	v_add_u32_e32 v5, -8, v14
	v_add_co_u32_e32 v10, vcc, 8, v10
	v_addc_co_u32_e32 v11, vcc, 0, v11, vcc
	s_waitcnt vmcnt(0) lgkmcnt(0)
	v_and_b32_e32 v14, 0xff, v21
	v_and_b32_e32 v15, 0xff00, v21
	;; [unrolled: 1-line block ×4, first 2 shown]
	v_or_b32_e32 v14, v14, v15
	v_or3_b32 v20, v20, 0, 0
	v_or3_b32 v21, v14, v22, v21
.LBB1_169:                              ;   in Loop: Header=BB1_145 Depth=1
	s_or_b64 exec, exec, s[4:5]
	v_cmp_gt_u32_e32 vcc, 8, v5
                                        ; implicit-def: $vgpr22_vgpr23
                                        ; implicit-def: $sgpr14
	s_and_saveexec_b64 s[4:5], vcc
	s_xor_b64 s[4:5], exec, s[4:5]
	s_cbranch_execz .LBB1_175
; %bb.170:                              ;   in Loop: Header=BB1_145 Depth=1
	v_cmp_ne_u32_e32 vcc, 0, v5
	v_pk_mov_b32 v[22:23], 0, 0
	s_and_saveexec_b64 s[14:15], vcc
	s_cbranch_execz .LBB1_174
; %bb.171:                              ;   in Loop: Header=BB1_145 Depth=1
	s_mov_b64 s[16:17], 0
	v_pk_mov_b32 v[22:23], 0, 0
	s_mov_b64 s[18:19], 0
	s_mov_b64 s[20:21], 0
.LBB1_172:                              ;   Parent Loop BB1_145 Depth=1
                                        ; =>  This Inner Loop Header: Depth=2
	v_mov_b32_e32 v15, s21
	v_add_co_u32_e32 v14, vcc, s20, v10
	v_addc_co_u32_e32 v15, vcc, v11, v15, vcc
	flat_load_ubyte v14, v[14:15]
	s_add_u32 s20, s20, 1
	v_mov_b32_e32 v15, s22
	s_addc_u32 s21, s21, 0
	v_cmp_eq_u32_e32 vcc, s20, v5
	s_waitcnt vmcnt(0) lgkmcnt(0)
	v_and_b32_e32 v14, 0xffff, v14
	v_lshlrev_b64 v[14:15], s18, v[14:15]
	s_add_u32 s18, s18, 8
	s_addc_u32 s19, s19, 0
	v_or_b32_e32 v23, v15, v23
	s_or_b64 s[16:17], vcc, s[16:17]
	v_or_b32_e32 v22, v14, v22
	s_andn2_b64 exec, exec, s[16:17]
	s_cbranch_execnz .LBB1_172
; %bb.173:                              ;   in Loop: Header=BB1_145 Depth=1
	s_or_b64 exec, exec, s[16:17]
.LBB1_174:                              ;   in Loop: Header=BB1_145 Depth=1
	s_or_b64 exec, exec, s[14:15]
	s_mov_b32 s14, 0
                                        ; implicit-def: $vgpr5
.LBB1_175:                              ;   in Loop: Header=BB1_145 Depth=1
	s_or_saveexec_b64 s[4:5], s[4:5]
	v_mov_b32_e32 v14, s14
	s_xor_b64 exec, exec, s[4:5]
	s_cbranch_execz .LBB1_177
; %bb.176:                              ;   in Loop: Header=BB1_145 Depth=1
	flat_load_dwordx2 v[22:23], v[10:11]
	v_add_u32_e32 v14, -8, v5
	v_add_co_u32_e32 v10, vcc, 8, v10
	v_addc_co_u32_e32 v11, vcc, 0, v11, vcc
	s_waitcnt vmcnt(0) lgkmcnt(0)
	v_and_b32_e32 v5, 0xff, v23
	v_and_b32_e32 v15, 0xff00, v23
	;; [unrolled: 1-line block ×4, first 2 shown]
	v_or_b32_e32 v5, v5, v15
	v_or3_b32 v22, v22, 0, 0
	v_or3_b32 v23, v5, v24, v23
.LBB1_177:                              ;   in Loop: Header=BB1_145 Depth=1
	s_or_b64 exec, exec, s[4:5]
	v_cmp_gt_u32_e32 vcc, 8, v14
                                        ; implicit-def: $sgpr14
	s_and_saveexec_b64 s[4:5], vcc
	s_xor_b64 s[4:5], exec, s[4:5]
	s_cbranch_execz .LBB1_183
; %bb.178:                              ;   in Loop: Header=BB1_145 Depth=1
	v_cmp_ne_u32_e32 vcc, 0, v14
	v_pk_mov_b32 v[24:25], 0, 0
	s_and_saveexec_b64 s[14:15], vcc
	s_cbranch_execz .LBB1_182
; %bb.179:                              ;   in Loop: Header=BB1_145 Depth=1
	s_mov_b64 s[16:17], 0
	v_pk_mov_b32 v[24:25], 0, 0
	s_mov_b64 s[18:19], 0
	s_mov_b64 s[20:21], 0
.LBB1_180:                              ;   Parent Loop BB1_145 Depth=1
                                        ; =>  This Inner Loop Header: Depth=2
	v_mov_b32_e32 v5, s21
	v_add_co_u32_e32 v26, vcc, s20, v10
	v_addc_co_u32_e32 v27, vcc, v11, v5, vcc
	flat_load_ubyte v5, v[26:27]
	s_add_u32 s20, s20, 1
	v_mov_b32_e32 v27, s22
	s_addc_u32 s21, s21, 0
	v_cmp_eq_u32_e32 vcc, s20, v14
	s_waitcnt vmcnt(0) lgkmcnt(0)
	v_and_b32_e32 v26, 0xffff, v5
	v_lshlrev_b64 v[26:27], s18, v[26:27]
	s_add_u32 s18, s18, 8
	s_addc_u32 s19, s19, 0
	v_or_b32_e32 v25, v27, v25
	s_or_b64 s[16:17], vcc, s[16:17]
	v_or_b32_e32 v24, v26, v24
	s_andn2_b64 exec, exec, s[16:17]
	s_cbranch_execnz .LBB1_180
; %bb.181:                              ;   in Loop: Header=BB1_145 Depth=1
	s_or_b64 exec, exec, s[16:17]
.LBB1_182:                              ;   in Loop: Header=BB1_145 Depth=1
	s_or_b64 exec, exec, s[14:15]
	s_mov_b32 s14, 0
                                        ; implicit-def: $vgpr14
.LBB1_183:                              ;   in Loop: Header=BB1_145 Depth=1
	s_or_saveexec_b64 s[4:5], s[4:5]
	v_mov_b32_e32 v5, s14
	s_xor_b64 exec, exec, s[4:5]
	s_cbranch_execz .LBB1_185
; %bb.184:                              ;   in Loop: Header=BB1_145 Depth=1
	flat_load_dwordx2 v[24:25], v[10:11]
	v_add_u32_e32 v5, -8, v14
	v_add_co_u32_e32 v10, vcc, 8, v10
	v_addc_co_u32_e32 v11, vcc, 0, v11, vcc
	s_waitcnt vmcnt(0) lgkmcnt(0)
	v_and_b32_e32 v14, 0xff, v25
	v_and_b32_e32 v15, 0xff00, v25
	;; [unrolled: 1-line block ×4, first 2 shown]
	v_or_b32_e32 v14, v14, v15
	v_or3_b32 v24, v24, 0, 0
	v_or3_b32 v25, v14, v26, v25
.LBB1_185:                              ;   in Loop: Header=BB1_145 Depth=1
	s_or_b64 exec, exec, s[4:5]
	v_cmp_gt_u32_e32 vcc, 8, v5
                                        ; implicit-def: $vgpr26_vgpr27
                                        ; implicit-def: $sgpr14
	s_and_saveexec_b64 s[4:5], vcc
	s_xor_b64 s[4:5], exec, s[4:5]
	s_cbranch_execz .LBB1_191
; %bb.186:                              ;   in Loop: Header=BB1_145 Depth=1
	v_cmp_ne_u32_e32 vcc, 0, v5
	v_pk_mov_b32 v[26:27], 0, 0
	s_and_saveexec_b64 s[14:15], vcc
	s_cbranch_execz .LBB1_190
; %bb.187:                              ;   in Loop: Header=BB1_145 Depth=1
	s_mov_b64 s[16:17], 0
	v_pk_mov_b32 v[26:27], 0, 0
	s_mov_b64 s[18:19], 0
	s_mov_b64 s[20:21], 0
.LBB1_188:                              ;   Parent Loop BB1_145 Depth=1
                                        ; =>  This Inner Loop Header: Depth=2
	v_mov_b32_e32 v15, s21
	v_add_co_u32_e32 v14, vcc, s20, v10
	v_addc_co_u32_e32 v15, vcc, v11, v15, vcc
	flat_load_ubyte v14, v[14:15]
	s_add_u32 s20, s20, 1
	v_mov_b32_e32 v15, s22
	s_addc_u32 s21, s21, 0
	v_cmp_eq_u32_e32 vcc, s20, v5
	s_waitcnt vmcnt(0) lgkmcnt(0)
	v_and_b32_e32 v14, 0xffff, v14
	v_lshlrev_b64 v[14:15], s18, v[14:15]
	s_add_u32 s18, s18, 8
	s_addc_u32 s19, s19, 0
	v_or_b32_e32 v27, v15, v27
	s_or_b64 s[16:17], vcc, s[16:17]
	v_or_b32_e32 v26, v14, v26
	s_andn2_b64 exec, exec, s[16:17]
	s_cbranch_execnz .LBB1_188
; %bb.189:                              ;   in Loop: Header=BB1_145 Depth=1
	s_or_b64 exec, exec, s[16:17]
.LBB1_190:                              ;   in Loop: Header=BB1_145 Depth=1
	s_or_b64 exec, exec, s[14:15]
	s_mov_b32 s14, 0
                                        ; implicit-def: $vgpr5
.LBB1_191:                              ;   in Loop: Header=BB1_145 Depth=1
	s_or_saveexec_b64 s[4:5], s[4:5]
	v_mov_b32_e32 v14, s14
	s_xor_b64 exec, exec, s[4:5]
	s_cbranch_execz .LBB1_193
; %bb.192:                              ;   in Loop: Header=BB1_145 Depth=1
	flat_load_dwordx2 v[26:27], v[10:11]
	v_add_u32_e32 v14, -8, v5
	v_add_co_u32_e32 v10, vcc, 8, v10
	v_addc_co_u32_e32 v11, vcc, 0, v11, vcc
	s_waitcnt vmcnt(0) lgkmcnt(0)
	v_and_b32_e32 v5, 0xff, v27
	v_and_b32_e32 v15, 0xff00, v27
	;; [unrolled: 1-line block ×4, first 2 shown]
	v_or_b32_e32 v5, v5, v15
	v_or3_b32 v26, v26, 0, 0
	v_or3_b32 v27, v5, v28, v27
.LBB1_193:                              ;   in Loop: Header=BB1_145 Depth=1
	s_or_b64 exec, exec, s[4:5]
	v_cmp_gt_u32_e32 vcc, 8, v14
	s_and_saveexec_b64 s[4:5], vcc
	s_xor_b64 s[4:5], exec, s[4:5]
	s_cbranch_execz .LBB1_199
; %bb.194:                              ;   in Loop: Header=BB1_145 Depth=1
	v_cmp_ne_u32_e32 vcc, 0, v14
	v_pk_mov_b32 v[28:29], 0, 0
	s_and_saveexec_b64 s[14:15], vcc
	s_cbranch_execz .LBB1_198
; %bb.195:                              ;   in Loop: Header=BB1_145 Depth=1
	s_mov_b64 s[16:17], 0
	v_pk_mov_b32 v[28:29], 0, 0
	s_mov_b64 s[18:19], 0
.LBB1_196:                              ;   Parent Loop BB1_145 Depth=1
                                        ; =>  This Inner Loop Header: Depth=2
	flat_load_ubyte v5, v[10:11]
	v_mov_b32_e32 v31, s22
	v_add_co_u32_e32 v10, vcc, 1, v10
	v_add_u32_e32 v14, -1, v14
	v_addc_co_u32_e32 v11, vcc, 0, v11, vcc
	v_cmp_eq_u32_e32 vcc, 0, v14
	s_waitcnt vmcnt(0) lgkmcnt(0)
	v_and_b32_e32 v30, 0xffff, v5
	v_lshlrev_b64 v[30:31], s18, v[30:31]
	s_add_u32 s18, s18, 8
	s_addc_u32 s19, s19, 0
	v_or_b32_e32 v29, v31, v29
	s_or_b64 s[16:17], vcc, s[16:17]
	v_or_b32_e32 v28, v30, v28
	s_andn2_b64 exec, exec, s[16:17]
	s_cbranch_execnz .LBB1_196
; %bb.197:                              ;   in Loop: Header=BB1_145 Depth=1
	s_or_b64 exec, exec, s[16:17]
.LBB1_198:                              ;   in Loop: Header=BB1_145 Depth=1
	s_or_b64 exec, exec, s[14:15]
                                        ; implicit-def: $vgpr10_vgpr11
.LBB1_199:                              ;   in Loop: Header=BB1_145 Depth=1
	s_andn2_saveexec_b64 s[4:5], s[4:5]
	s_cbranch_execz .LBB1_201
; %bb.200:                              ;   in Loop: Header=BB1_145 Depth=1
	flat_load_dwordx2 v[10:11], v[10:11]
	s_waitcnt vmcnt(0) lgkmcnt(0)
	v_and_b32_e32 v5, 0xff, v11
	v_and_b32_e32 v14, 0xff00, v11
	;; [unrolled: 1-line block ×4, first 2 shown]
	v_or_b32_e32 v5, v5, v14
	v_or3_b32 v29, v5, v15, v11
	v_or3_b32 v28, v10, 0, 0
.LBB1_201:                              ;   in Loop: Header=BB1_145 Depth=1
	s_or_b64 exec, exec, s[4:5]
	v_readfirstlane_b32 s4, v53
	v_cmp_eq_u32_e64 s[4:5], s4, v53
	v_pk_mov_b32 v[10:11], 0, 0
	s_and_saveexec_b64 s[14:15], s[4:5]
	s_cbranch_execz .LBB1_207
; %bb.202:                              ;   in Loop: Header=BB1_145 Depth=1
	global_load_dwordx2 v[32:33], v39, s[10:11] offset:24 glc
	s_waitcnt vmcnt(0)
	buffer_invl2
	buffer_wbinvl1_vol
	global_load_dwordx2 v[10:11], v39, s[10:11] offset:40
	global_load_dwordx2 v[14:15], v39, s[10:11]
	s_waitcnt vmcnt(1)
	v_and_b32_e32 v5, v10, v32
	v_and_b32_e32 v10, v11, v33
	v_mul_lo_u32 v10, v10, 24
	v_mul_hi_u32 v11, v5, 24
	v_mul_lo_u32 v5, v5, 24
	v_add_u32_e32 v11, v11, v10
	s_waitcnt vmcnt(0)
	v_add_co_u32_e32 v10, vcc, v14, v5
	v_addc_co_u32_e32 v11, vcc, v15, v11, vcc
	global_load_dwordx2 v[30:31], v[10:11], off glc
	s_waitcnt vmcnt(0)
	global_atomic_cmpswap_x2 v[10:11], v39, v[30:33], s[10:11] offset:24 glc
	s_waitcnt vmcnt(0)
	buffer_invl2
	buffer_wbinvl1_vol
	v_cmp_ne_u64_e32 vcc, v[10:11], v[32:33]
	s_and_saveexec_b64 s[16:17], vcc
	s_cbranch_execz .LBB1_206
; %bb.203:                              ;   in Loop: Header=BB1_145 Depth=1
	s_mov_b64 s[18:19], 0
.LBB1_204:                              ;   Parent Loop BB1_145 Depth=1
                                        ; =>  This Inner Loop Header: Depth=2
	s_sleep 1
	global_load_dwordx2 v[14:15], v39, s[10:11] offset:40
	global_load_dwordx2 v[30:31], v39, s[10:11]
	v_pk_mov_b32 v[32:33], v[10:11], v[10:11] op_sel:[0,1]
	s_waitcnt vmcnt(1)
	v_and_b32_e32 v10, v14, v32
	s_waitcnt vmcnt(0)
	v_mad_u64_u32 v[10:11], s[20:21], v10, 24, v[30:31]
	v_and_b32_e32 v5, v15, v33
	v_mov_b32_e32 v14, v11
	v_mad_u64_u32 v[14:15], s[20:21], v5, 24, v[14:15]
	v_mov_b32_e32 v11, v14
	global_load_dwordx2 v[30:31], v[10:11], off glc
	s_waitcnt vmcnt(0)
	global_atomic_cmpswap_x2 v[10:11], v39, v[30:33], s[10:11] offset:24 glc
	s_waitcnt vmcnt(0)
	buffer_invl2
	buffer_wbinvl1_vol
	v_cmp_eq_u64_e32 vcc, v[10:11], v[32:33]
	s_or_b64 s[18:19], vcc, s[18:19]
	s_andn2_b64 exec, exec, s[18:19]
	s_cbranch_execnz .LBB1_204
; %bb.205:                              ;   in Loop: Header=BB1_145 Depth=1
	s_or_b64 exec, exec, s[18:19]
.LBB1_206:                              ;   in Loop: Header=BB1_145 Depth=1
	s_or_b64 exec, exec, s[16:17]
.LBB1_207:                              ;   in Loop: Header=BB1_145 Depth=1
	s_or_b64 exec, exec, s[14:15]
	global_load_dwordx2 v[14:15], v39, s[10:11] offset:40
	global_load_dwordx4 v[30:33], v39, s[10:11]
	v_readfirstlane_b32 s14, v10
	v_readfirstlane_b32 s15, v11
	s_mov_b64 s[16:17], exec
	s_waitcnt vmcnt(1)
	v_readfirstlane_b32 s18, v14
	v_readfirstlane_b32 s19, v15
	s_and_b64 s[18:19], s[14:15], s[18:19]
	s_mul_i32 s20, s19, 24
	s_mul_hi_u32 s21, s18, 24
	s_mul_i32 s24, s18, 24
	s_add_i32 s20, s21, s20
	v_mov_b32_e32 v5, s20
	s_waitcnt vmcnt(0)
	v_add_co_u32_e32 v50, vcc, s24, v30
	v_addc_co_u32_e32 v51, vcc, v31, v5, vcc
	s_and_saveexec_b64 s[20:21], s[4:5]
	s_cbranch_execz .LBB1_209
; %bb.208:                              ;   in Loop: Header=BB1_145 Depth=1
	v_pk_mov_b32 v[10:11], s[16:17], s[16:17] op_sel:[0,1]
	global_store_dwordx4 v[50:51], v[10:13], off offset:8
.LBB1_209:                              ;   in Loop: Header=BB1_145 Depth=1
	s_or_b64 exec, exec, s[20:21]
	s_lshl_b64 s[16:17], s[18:19], 12
	v_mov_b32_e32 v5, s17
	v_add_co_u32_e32 v32, vcc, s16, v32
	v_addc_co_u32_e32 v5, vcc, v33, v5, vcc
	v_or_b32_e32 v10, 0, v9
	v_cmp_lt_u64_e32 vcc, 56, v[0:1]
	v_or_b32_e32 v11, v8, v36
	v_cndmask_b32_e32 v15, v10, v9, vcc
	v_lshl_add_u32 v9, v48, 2, 28
	v_cndmask_b32_e32 v8, v11, v8, vcc
	v_and_b32_e32 v9, 0x1e0, v9
	v_and_or_b32 v14, v8, s23, v9
	v_readfirstlane_b32 s16, v32
	v_readfirstlane_b32 s17, v5
	s_nop 4
	global_store_dwordx4 v52, v[14:17], s[16:17]
	global_store_dwordx4 v52, v[18:21], s[16:17] offset:16
	global_store_dwordx4 v52, v[22:25], s[16:17] offset:32
	global_store_dwordx4 v52, v[26:29], s[16:17] offset:48
	s_and_saveexec_b64 s[16:17], s[4:5]
	s_cbranch_execz .LBB1_217
; %bb.210:                              ;   in Loop: Header=BB1_145 Depth=1
	global_load_dwordx2 v[18:19], v39, s[10:11] offset:32 glc
	global_load_dwordx2 v[8:9], v39, s[10:11] offset:40
	v_mov_b32_e32 v16, s14
	v_mov_b32_e32 v17, s15
	s_waitcnt vmcnt(0)
	v_readfirstlane_b32 s18, v8
	v_readfirstlane_b32 s19, v9
	s_and_b64 s[18:19], s[18:19], s[14:15]
	s_mul_i32 s19, s19, 24
	s_mul_hi_u32 s20, s18, 24
	s_mul_i32 s18, s18, 24
	s_add_i32 s19, s20, s19
	v_mov_b32_e32 v8, s19
	v_add_co_u32_e32 v14, vcc, s18, v30
	v_addc_co_u32_e32 v15, vcc, v31, v8, vcc
	global_store_dwordx2 v[14:15], v[18:19], off
	buffer_wbl2
	s_waitcnt vmcnt(0)
	global_atomic_cmpswap_x2 v[10:11], v39, v[16:19], s[10:11] offset:32 glc
	s_waitcnt vmcnt(0)
	v_cmp_ne_u64_e32 vcc, v[10:11], v[18:19]
	s_and_saveexec_b64 s[18:19], vcc
	s_cbranch_execz .LBB1_213
; %bb.211:                              ;   in Loop: Header=BB1_145 Depth=1
	s_mov_b64 s[20:21], 0
.LBB1_212:                              ;   Parent Loop BB1_145 Depth=1
                                        ; =>  This Inner Loop Header: Depth=2
	s_sleep 1
	global_store_dwordx2 v[14:15], v[10:11], off
	v_mov_b32_e32 v8, s14
	v_mov_b32_e32 v9, s15
	buffer_wbl2
	s_waitcnt vmcnt(0)
	global_atomic_cmpswap_x2 v[8:9], v39, v[8:11], s[10:11] offset:32 glc
	s_waitcnt vmcnt(0)
	v_cmp_eq_u64_e32 vcc, v[8:9], v[10:11]
	s_or_b64 s[20:21], vcc, s[20:21]
	v_pk_mov_b32 v[10:11], v[8:9], v[8:9] op_sel:[0,1]
	s_andn2_b64 exec, exec, s[20:21]
	s_cbranch_execnz .LBB1_212
.LBB1_213:                              ;   in Loop: Header=BB1_145 Depth=1
	s_or_b64 exec, exec, s[18:19]
	global_load_dwordx2 v[8:9], v39, s[10:11] offset:16
	s_mov_b64 s[20:21], exec
	v_mbcnt_lo_u32_b32 v10, s20, 0
	v_mbcnt_hi_u32_b32 v10, s21, v10
	v_cmp_eq_u32_e32 vcc, 0, v10
	s_and_saveexec_b64 s[18:19], vcc
	s_cbranch_execz .LBB1_215
; %bb.214:                              ;   in Loop: Header=BB1_145 Depth=1
	s_bcnt1_i32_b64 s20, s[20:21]
	v_mov_b32_e32 v38, s20
	buffer_wbl2
	s_waitcnt vmcnt(0)
	global_atomic_add_x2 v[8:9], v[38:39], off offset:8
.LBB1_215:                              ;   in Loop: Header=BB1_145 Depth=1
	s_or_b64 exec, exec, s[18:19]
	s_waitcnt vmcnt(0)
	global_load_dwordx2 v[10:11], v[8:9], off offset:16
	s_waitcnt vmcnt(0)
	v_cmp_eq_u64_e32 vcc, 0, v[10:11]
	s_cbranch_vccnz .LBB1_217
; %bb.216:                              ;   in Loop: Header=BB1_145 Depth=1
	global_load_dword v38, v[8:9], off offset:24
	s_waitcnt vmcnt(0)
	v_and_b32_e32 v8, 0xffffff, v38
	v_readfirstlane_b32 m0, v8
	buffer_wbl2
	global_store_dwordx2 v[10:11], v[38:39], off
	s_sendmsg sendmsg(MSG_INTERRUPT)
.LBB1_217:                              ;   in Loop: Header=BB1_145 Depth=1
	s_or_b64 exec, exec, s[16:17]
	v_add_co_u32_e32 v8, vcc, v32, v52
	v_addc_co_u32_e32 v9, vcc, 0, v5, vcc
	s_branch .LBB1_221
.LBB1_218:                              ;   in Loop: Header=BB1_221 Depth=2
	s_or_b64 exec, exec, s[16:17]
	v_readfirstlane_b32 s16, v5
	s_cmp_eq_u32 s16, 0
	s_cbranch_scc1 .LBB1_220
; %bb.219:                              ;   in Loop: Header=BB1_221 Depth=2
	s_sleep 1
	s_cbranch_execnz .LBB1_221
	s_branch .LBB1_223
.LBB1_220:                              ;   in Loop: Header=BB1_145 Depth=1
	s_branch .LBB1_223
.LBB1_221:                              ;   Parent Loop BB1_145 Depth=1
                                        ; =>  This Inner Loop Header: Depth=2
	v_mov_b32_e32 v5, 1
	s_and_saveexec_b64 s[16:17], s[4:5]
	s_cbranch_execz .LBB1_218
; %bb.222:                              ;   in Loop: Header=BB1_221 Depth=2
	global_load_dword v5, v[50:51], off offset:20 glc
	s_waitcnt vmcnt(0)
	buffer_invl2
	buffer_wbinvl1_vol
	v_and_b32_e32 v5, 1, v5
	s_branch .LBB1_218
.LBB1_223:                              ;   in Loop: Header=BB1_145 Depth=1
	global_load_dwordx4 v[8:11], v[8:9], off
	s_and_saveexec_b64 s[16:17], s[4:5]
	s_cbranch_execz .LBB1_144
; %bb.224:                              ;   in Loop: Header=BB1_145 Depth=1
	global_load_dwordx2 v[10:11], v39, s[10:11] offset:40
	global_load_dwordx2 v[18:19], v39, s[10:11] offset:24 glc
	global_load_dwordx2 v[20:21], v39, s[10:11]
	v_mov_b32_e32 v5, s15
	s_waitcnt vmcnt(2)
	v_add_co_u32_e32 v17, vcc, 1, v10
	v_addc_co_u32_e32 v22, vcc, 0, v11, vcc
	v_add_co_u32_e32 v14, vcc, s14, v17
	v_addc_co_u32_e32 v15, vcc, v22, v5, vcc
	v_cmp_eq_u64_e32 vcc, 0, v[14:15]
	v_cndmask_b32_e32 v15, v15, v22, vcc
	v_cndmask_b32_e32 v14, v14, v17, vcc
	v_and_b32_e32 v5, v15, v11
	v_and_b32_e32 v10, v14, v10
	v_mul_lo_u32 v5, v5, 24
	v_mul_hi_u32 v11, v10, 24
	v_mul_lo_u32 v10, v10, 24
	v_add_u32_e32 v5, v11, v5
	s_waitcnt vmcnt(0)
	v_add_co_u32_e32 v10, vcc, v20, v10
	v_addc_co_u32_e32 v11, vcc, v21, v5, vcc
	v_mov_b32_e32 v16, v18
	global_store_dwordx2 v[10:11], v[18:19], off
	v_mov_b32_e32 v17, v19
	buffer_wbl2
	s_waitcnt vmcnt(0)
	global_atomic_cmpswap_x2 v[16:17], v39, v[14:17], s[10:11] offset:24 glc
	s_waitcnt vmcnt(0)
	v_cmp_ne_u64_e32 vcc, v[16:17], v[18:19]
	s_and_b64 exec, exec, vcc
	s_cbranch_execz .LBB1_144
; %bb.225:                              ;   in Loop: Header=BB1_145 Depth=1
	s_mov_b64 s[4:5], 0
.LBB1_226:                              ;   Parent Loop BB1_145 Depth=1
                                        ; =>  This Inner Loop Header: Depth=2
	s_sleep 1
	global_store_dwordx2 v[10:11], v[16:17], off
	buffer_wbl2
	s_waitcnt vmcnt(0)
	global_atomic_cmpswap_x2 v[18:19], v39, v[14:17], s[10:11] offset:24 glc
	s_waitcnt vmcnt(0)
	v_cmp_eq_u64_e32 vcc, v[18:19], v[16:17]
	s_or_b64 s[4:5], vcc, s[4:5]
	v_pk_mov_b32 v[16:17], v[18:19], v[18:19] op_sel:[0,1]
	s_andn2_b64 exec, exec, s[4:5]
	s_cbranch_execnz .LBB1_226
	s_branch .LBB1_144
.LBB1_227:
	s_or_b64 exec, exec, s[6:7]
.LBB1_228:
	s_andn2_saveexec_b64 s[6:7], s[12:13]
	s_cbranch_execz .LBB1_255
; %bb.229:
	v_readfirstlane_b32 s4, v53
	v_cmp_eq_u32_e64 s[4:5], s4, v53
	v_pk_mov_b32 v[12:13], 0, 0
	s_and_saveexec_b64 s[12:13], s[4:5]
	s_cbranch_execz .LBB1_235
; %bb.230:
	v_mov_b32_e32 v0, 0
	global_load_dwordx2 v[14:15], v0, s[10:11] offset:24 glc
	s_waitcnt vmcnt(0)
	buffer_invl2
	buffer_wbinvl1_vol
	global_load_dwordx2 v[2:3], v0, s[10:11] offset:40
	global_load_dwordx2 v[10:11], v0, s[10:11]
	s_waitcnt vmcnt(1)
	v_and_b32_e32 v1, v2, v14
	v_and_b32_e32 v2, v3, v15
	v_mul_lo_u32 v2, v2, 24
	v_mul_hi_u32 v3, v1, 24
	v_mul_lo_u32 v1, v1, 24
	v_add_u32_e32 v3, v3, v2
	s_waitcnt vmcnt(0)
	v_add_co_u32_e32 v2, vcc, v10, v1
	v_addc_co_u32_e32 v3, vcc, v11, v3, vcc
	global_load_dwordx2 v[12:13], v[2:3], off glc
	s_waitcnt vmcnt(0)
	global_atomic_cmpswap_x2 v[12:13], v0, v[12:15], s[10:11] offset:24 glc
	s_waitcnt vmcnt(0)
	buffer_invl2
	buffer_wbinvl1_vol
	v_cmp_ne_u64_e32 vcc, v[12:13], v[14:15]
	s_and_saveexec_b64 s[14:15], vcc
	s_cbranch_execz .LBB1_234
; %bb.231:
	s_mov_b64 s[16:17], 0
.LBB1_232:                              ; =>This Inner Loop Header: Depth=1
	s_sleep 1
	global_load_dwordx2 v[2:3], v0, s[10:11] offset:40
	global_load_dwordx2 v[10:11], v0, s[10:11]
	v_pk_mov_b32 v[14:15], v[12:13], v[12:13] op_sel:[0,1]
	s_waitcnt vmcnt(1)
	v_and_b32_e32 v2, v2, v14
	v_and_b32_e32 v1, v3, v15
	s_waitcnt vmcnt(0)
	v_mad_u64_u32 v[2:3], s[18:19], v2, 24, v[10:11]
	v_mov_b32_e32 v10, v3
	v_mad_u64_u32 v[10:11], s[18:19], v1, 24, v[10:11]
	v_mov_b32_e32 v3, v10
	global_load_dwordx2 v[12:13], v[2:3], off glc
	s_waitcnt vmcnt(0)
	global_atomic_cmpswap_x2 v[12:13], v0, v[12:15], s[10:11] offset:24 glc
	s_waitcnt vmcnt(0)
	buffer_invl2
	buffer_wbinvl1_vol
	v_cmp_eq_u64_e32 vcc, v[12:13], v[14:15]
	s_or_b64 s[16:17], vcc, s[16:17]
	s_andn2_b64 exec, exec, s[16:17]
	s_cbranch_execnz .LBB1_232
; %bb.233:
	s_or_b64 exec, exec, s[16:17]
.LBB1_234:
	s_or_b64 exec, exec, s[14:15]
.LBB1_235:
	s_or_b64 exec, exec, s[12:13]
	s_waitcnt vmcnt(0)
	v_mov_b32_e32 v10, 0
	global_load_dwordx2 v[14:15], v10, s[10:11] offset:40
	global_load_dwordx4 v[0:3], v10, s[10:11]
	v_readfirstlane_b32 s12, v12
	v_readfirstlane_b32 s13, v13
	s_mov_b64 s[14:15], exec
	s_waitcnt vmcnt(1)
	v_readfirstlane_b32 s16, v14
	v_readfirstlane_b32 s17, v15
	s_and_b64 s[16:17], s[12:13], s[16:17]
	s_mul_i32 s18, s17, 24
	s_mul_hi_u32 s19, s16, 24
	s_mul_i32 s20, s16, 24
	s_add_i32 s18, s19, s18
	v_mov_b32_e32 v5, s18
	s_waitcnt vmcnt(0)
	v_add_co_u32_e32 v12, vcc, s20, v0
	v_addc_co_u32_e32 v13, vcc, v1, v5, vcc
	s_and_saveexec_b64 s[18:19], s[4:5]
	s_cbranch_execz .LBB1_237
; %bb.236:
	v_pk_mov_b32 v[14:15], s[14:15], s[14:15] op_sel:[0,1]
	v_mov_b32_e32 v16, 2
	v_mov_b32_e32 v17, 1
	global_store_dwordx4 v[12:13], v[14:17], off offset:8
.LBB1_237:
	s_or_b64 exec, exec, s[18:19]
	s_lshl_b64 s[14:15], s[16:17], 12
	v_mov_b32_e32 v5, s15
	v_add_co_u32_e32 v2, vcc, s14, v2
	v_addc_co_u32_e32 v3, vcc, v3, v5, vcc
	s_movk_i32 s14, 0xff1f
	s_mov_b32 s16, 0
	v_and_or_b32 v8, v8, s14, 32
	v_mov_b32_e32 v11, v10
	v_readfirstlane_b32 s14, v2
	v_readfirstlane_b32 s15, v3
	s_mov_b32 s17, s16
	v_add_co_u32_e32 v14, vcc, v2, v52
	s_mov_b32 s18, s16
	s_mov_b32 s19, s16
	s_nop 0
	global_store_dwordx4 v52, v[8:11], s[14:15]
	v_addc_co_u32_e32 v15, vcc, 0, v3, vcc
	v_pk_mov_b32 v[8:9], s[16:17], s[16:17] op_sel:[0,1]
	v_pk_mov_b32 v[10:11], s[18:19], s[18:19] op_sel:[0,1]
	global_store_dwordx4 v52, v[8:11], s[14:15] offset:16
	global_store_dwordx4 v52, v[8:11], s[14:15] offset:32
	;; [unrolled: 1-line block ×3, first 2 shown]
	s_and_saveexec_b64 s[14:15], s[4:5]
	s_cbranch_execz .LBB1_245
; %bb.238:
	v_mov_b32_e32 v5, 0
	global_load_dwordx2 v[18:19], v5, s[10:11] offset:32 glc
	global_load_dwordx2 v[2:3], v5, s[10:11] offset:40
	v_mov_b32_e32 v16, s12
	v_mov_b32_e32 v17, s13
	s_waitcnt vmcnt(0)
	v_readfirstlane_b32 s16, v2
	v_readfirstlane_b32 s17, v3
	s_and_b64 s[16:17], s[16:17], s[12:13]
	s_mul_i32 s17, s17, 24
	s_mul_hi_u32 s18, s16, 24
	s_mul_i32 s16, s16, 24
	s_add_i32 s17, s18, s17
	v_mov_b32_e32 v2, s17
	v_add_co_u32_e32 v8, vcc, s16, v0
	v_addc_co_u32_e32 v9, vcc, v1, v2, vcc
	global_store_dwordx2 v[8:9], v[18:19], off
	buffer_wbl2
	s_waitcnt vmcnt(0)
	global_atomic_cmpswap_x2 v[2:3], v5, v[16:19], s[10:11] offset:32 glc
	s_waitcnt vmcnt(0)
	v_cmp_ne_u64_e32 vcc, v[2:3], v[18:19]
	s_and_saveexec_b64 s[16:17], vcc
	s_cbranch_execz .LBB1_241
; %bb.239:
	s_mov_b64 s[18:19], 0
.LBB1_240:                              ; =>This Inner Loop Header: Depth=1
	s_sleep 1
	global_store_dwordx2 v[8:9], v[2:3], off
	v_mov_b32_e32 v0, s12
	v_mov_b32_e32 v1, s13
	buffer_wbl2
	s_waitcnt vmcnt(0)
	global_atomic_cmpswap_x2 v[0:1], v5, v[0:3], s[10:11] offset:32 glc
	s_waitcnt vmcnt(0)
	v_cmp_eq_u64_e32 vcc, v[0:1], v[2:3]
	s_or_b64 s[18:19], vcc, s[18:19]
	v_pk_mov_b32 v[2:3], v[0:1], v[0:1] op_sel:[0,1]
	s_andn2_b64 exec, exec, s[18:19]
	s_cbranch_execnz .LBB1_240
.LBB1_241:
	s_or_b64 exec, exec, s[16:17]
	v_mov_b32_e32 v3, 0
	global_load_dwordx2 v[0:1], v3, s[10:11] offset:16
	s_mov_b64 s[16:17], exec
	v_mbcnt_lo_u32_b32 v2, s16, 0
	v_mbcnt_hi_u32_b32 v2, s17, v2
	v_cmp_eq_u32_e32 vcc, 0, v2
	s_and_saveexec_b64 s[18:19], vcc
	s_cbranch_execz .LBB1_243
; %bb.242:
	s_bcnt1_i32_b64 s16, s[16:17]
	v_mov_b32_e32 v2, s16
	buffer_wbl2
	s_waitcnt vmcnt(0)
	global_atomic_add_x2 v[0:1], v[2:3], off offset:8
.LBB1_243:
	s_or_b64 exec, exec, s[18:19]
	s_waitcnt vmcnt(0)
	global_load_dwordx2 v[2:3], v[0:1], off offset:16
	s_waitcnt vmcnt(0)
	v_cmp_eq_u64_e32 vcc, 0, v[2:3]
	s_cbranch_vccnz .LBB1_245
; %bb.244:
	global_load_dword v0, v[0:1], off offset:24
	v_mov_b32_e32 v1, 0
	buffer_wbl2
	s_waitcnt vmcnt(0)
	global_store_dwordx2 v[2:3], v[0:1], off
	v_and_b32_e32 v0, 0xffffff, v0
	v_readfirstlane_b32 m0, v0
	s_sendmsg sendmsg(MSG_INTERRUPT)
.LBB1_245:
	s_or_b64 exec, exec, s[14:15]
	s_branch .LBB1_249
.LBB1_246:                              ;   in Loop: Header=BB1_249 Depth=1
	s_or_b64 exec, exec, s[14:15]
	v_readfirstlane_b32 s14, v0
	s_cmp_eq_u32 s14, 0
	s_cbranch_scc1 .LBB1_248
; %bb.247:                              ;   in Loop: Header=BB1_249 Depth=1
	s_sleep 1
	s_cbranch_execnz .LBB1_249
	s_branch .LBB1_251
.LBB1_248:
	s_branch .LBB1_251
.LBB1_249:                              ; =>This Inner Loop Header: Depth=1
	v_mov_b32_e32 v0, 1
	s_and_saveexec_b64 s[14:15], s[4:5]
	s_cbranch_execz .LBB1_246
; %bb.250:                              ;   in Loop: Header=BB1_249 Depth=1
	global_load_dword v0, v[12:13], off offset:20 glc
	s_waitcnt vmcnt(0)
	buffer_invl2
	buffer_wbinvl1_vol
	v_and_b32_e32 v0, 1, v0
	s_branch .LBB1_246
.LBB1_251:
	global_load_dwordx2 v[8:9], v[14:15], off
	s_and_saveexec_b64 s[14:15], s[4:5]
	s_cbranch_execz .LBB1_254
; %bb.252:
	v_mov_b32_e32 v5, 0
	global_load_dwordx2 v[10:11], v5, s[10:11] offset:40
	global_load_dwordx2 v[12:13], v5, s[10:11] offset:24 glc
	global_load_dwordx2 v[14:15], v5, s[10:11]
	v_mov_b32_e32 v1, s13
	s_mov_b64 s[4:5], 0
	s_waitcnt vmcnt(2)
	v_add_co_u32_e32 v3, vcc, 1, v10
	v_addc_co_u32_e32 v16, vcc, 0, v11, vcc
	v_add_co_u32_e32 v0, vcc, s12, v3
	v_addc_co_u32_e32 v1, vcc, v16, v1, vcc
	v_cmp_eq_u64_e32 vcc, 0, v[0:1]
	v_cndmask_b32_e32 v1, v1, v16, vcc
	v_cndmask_b32_e32 v0, v0, v3, vcc
	v_and_b32_e32 v3, v1, v11
	v_and_b32_e32 v10, v0, v10
	v_mul_lo_u32 v3, v3, 24
	v_mul_hi_u32 v11, v10, 24
	v_mul_lo_u32 v10, v10, 24
	v_add_u32_e32 v3, v11, v3
	s_waitcnt vmcnt(0)
	v_add_co_u32_e32 v10, vcc, v14, v10
	v_addc_co_u32_e32 v11, vcc, v15, v3, vcc
	v_mov_b32_e32 v2, v12
	global_store_dwordx2 v[10:11], v[12:13], off
	v_mov_b32_e32 v3, v13
	buffer_wbl2
	s_waitcnt vmcnt(0)
	global_atomic_cmpswap_x2 v[2:3], v5, v[0:3], s[10:11] offset:24 glc
	s_waitcnt vmcnt(0)
	v_cmp_ne_u64_e32 vcc, v[2:3], v[12:13]
	s_and_b64 exec, exec, vcc
	s_cbranch_execz .LBB1_254
.LBB1_253:                              ; =>This Inner Loop Header: Depth=1
	s_sleep 1
	global_store_dwordx2 v[10:11], v[2:3], off
	buffer_wbl2
	s_waitcnt vmcnt(0)
	global_atomic_cmpswap_x2 v[12:13], v5, v[0:3], s[10:11] offset:24 glc
	s_waitcnt vmcnt(0)
	v_cmp_eq_u64_e32 vcc, v[12:13], v[2:3]
	s_or_b64 s[4:5], vcc, s[4:5]
	v_pk_mov_b32 v[2:3], v[12:13], v[12:13] op_sel:[0,1]
	s_andn2_b64 exec, exec, s[4:5]
	s_cbranch_execnz .LBB1_253
.LBB1_254:
	s_or_b64 exec, exec, s[14:15]
.LBB1_255:
	s_or_b64 exec, exec, s[6:7]
	v_readfirstlane_b32 s4, v53
	v_cmp_eq_u32_e64 s[4:5], s4, v53
	v_pk_mov_b32 v[12:13], 0, 0
	s_and_saveexec_b64 s[6:7], s[4:5]
	s_cbranch_execz .LBB1_261
; %bb.256:
	v_mov_b32_e32 v0, 0
	global_load_dwordx2 v[14:15], v0, s[10:11] offset:24 glc
	s_waitcnt vmcnt(0)
	buffer_invl2
	buffer_wbinvl1_vol
	global_load_dwordx2 v[2:3], v0, s[10:11] offset:40
	global_load_dwordx2 v[10:11], v0, s[10:11]
	s_waitcnt vmcnt(1)
	v_and_b32_e32 v1, v2, v14
	v_and_b32_e32 v2, v3, v15
	v_mul_lo_u32 v2, v2, 24
	v_mul_hi_u32 v3, v1, 24
	v_mul_lo_u32 v1, v1, 24
	v_add_u32_e32 v3, v3, v2
	s_waitcnt vmcnt(0)
	v_add_co_u32_e32 v2, vcc, v10, v1
	v_addc_co_u32_e32 v3, vcc, v11, v3, vcc
	global_load_dwordx2 v[12:13], v[2:3], off glc
	s_waitcnt vmcnt(0)
	global_atomic_cmpswap_x2 v[12:13], v0, v[12:15], s[10:11] offset:24 glc
	s_waitcnt vmcnt(0)
	buffer_invl2
	buffer_wbinvl1_vol
	v_cmp_ne_u64_e32 vcc, v[12:13], v[14:15]
	s_and_saveexec_b64 s[12:13], vcc
	s_cbranch_execz .LBB1_260
; %bb.257:
	s_mov_b64 s[14:15], 0
.LBB1_258:                              ; =>This Inner Loop Header: Depth=1
	s_sleep 1
	global_load_dwordx2 v[2:3], v0, s[10:11] offset:40
	global_load_dwordx2 v[10:11], v0, s[10:11]
	v_pk_mov_b32 v[14:15], v[12:13], v[12:13] op_sel:[0,1]
	s_waitcnt vmcnt(1)
	v_and_b32_e32 v2, v2, v14
	v_and_b32_e32 v1, v3, v15
	s_waitcnt vmcnt(0)
	v_mad_u64_u32 v[2:3], s[16:17], v2, 24, v[10:11]
	v_mov_b32_e32 v10, v3
	v_mad_u64_u32 v[10:11], s[16:17], v1, 24, v[10:11]
	v_mov_b32_e32 v3, v10
	global_load_dwordx2 v[12:13], v[2:3], off glc
	s_waitcnt vmcnt(0)
	global_atomic_cmpswap_x2 v[12:13], v0, v[12:15], s[10:11] offset:24 glc
	s_waitcnt vmcnt(0)
	buffer_invl2
	buffer_wbinvl1_vol
	v_cmp_eq_u64_e32 vcc, v[12:13], v[14:15]
	s_or_b64 s[14:15], vcc, s[14:15]
	s_andn2_b64 exec, exec, s[14:15]
	s_cbranch_execnz .LBB1_258
; %bb.259:
	s_or_b64 exec, exec, s[14:15]
.LBB1_260:
	s_or_b64 exec, exec, s[12:13]
.LBB1_261:
	s_or_b64 exec, exec, s[6:7]
	s_waitcnt vmcnt(0)
	v_mov_b32_e32 v11, 0
	global_load_dwordx2 v[14:15], v11, s[10:11] offset:40
	global_load_dwordx4 v[0:3], v11, s[10:11]
	v_readfirstlane_b32 s6, v12
	v_readfirstlane_b32 s7, v13
	s_mov_b64 s[12:13], exec
	s_waitcnt vmcnt(1)
	v_readfirstlane_b32 s14, v14
	v_readfirstlane_b32 s15, v15
	s_and_b64 s[14:15], s[6:7], s[14:15]
	s_mul_i32 s16, s15, 24
	s_mul_hi_u32 s17, s14, 24
	s_mul_i32 s18, s14, 24
	s_add_i32 s16, s17, s16
	v_mov_b32_e32 v5, s16
	s_waitcnt vmcnt(0)
	v_add_co_u32_e32 v12, vcc, s18, v0
	v_addc_co_u32_e32 v13, vcc, v1, v5, vcc
	s_and_saveexec_b64 s[16:17], s[4:5]
	s_cbranch_execz .LBB1_263
; %bb.262:
	v_pk_mov_b32 v[14:15], s[12:13], s[12:13] op_sel:[0,1]
	v_mov_b32_e32 v16, 2
	v_mov_b32_e32 v17, 1
	global_store_dwordx4 v[12:13], v[14:17], off offset:8
.LBB1_263:
	s_or_b64 exec, exec, s[16:17]
	s_lshl_b64 s[12:13], s[14:15], 12
	v_mov_b32_e32 v5, s13
	v_add_co_u32_e32 v2, vcc, s12, v2
	v_addc_co_u32_e32 v3, vcc, v3, v5, vcc
	s_mov_b32 s12, 0
	s_movk_i32 s13, 0xff1f
	v_and_or_b32 v8, v8, s13, 32
	v_add_co_u32_e32 v14, vcc, v2, v52
	s_mov_b32 s13, s12
	v_addc_co_u32_e32 v15, vcc, 0, v3, vcc
	v_mov_b32_e32 v10, v4
	v_readfirstlane_b32 s16, v2
	v_readfirstlane_b32 s17, v3
	s_mov_b32 s14, s12
	s_mov_b32 s15, s12
	v_pk_mov_b32 v[2:3], s[12:13], s[12:13] op_sel:[0,1]
	v_pk_mov_b32 v[4:5], s[14:15], s[14:15] op_sel:[0,1]
	s_nop 0
	global_store_dwordx4 v52, v[8:11], s[16:17]
	global_store_dwordx4 v52, v[2:5], s[16:17] offset:16
	global_store_dwordx4 v52, v[2:5], s[16:17] offset:32
	;; [unrolled: 1-line block ×3, first 2 shown]
	s_and_saveexec_b64 s[12:13], s[4:5]
	s_cbranch_execz .LBB1_271
; %bb.264:
	v_mov_b32_e32 v8, 0
	global_load_dwordx2 v[18:19], v8, s[10:11] offset:32 glc
	global_load_dwordx2 v[2:3], v8, s[10:11] offset:40
	v_mov_b32_e32 v16, s6
	v_mov_b32_e32 v17, s7
	s_waitcnt vmcnt(0)
	v_readfirstlane_b32 s14, v2
	v_readfirstlane_b32 s15, v3
	s_and_b64 s[14:15], s[14:15], s[6:7]
	s_mul_i32 s15, s15, 24
	s_mul_hi_u32 s16, s14, 24
	s_mul_i32 s14, s14, 24
	s_add_i32 s15, s16, s15
	v_mov_b32_e32 v2, s15
	v_add_co_u32_e32 v4, vcc, s14, v0
	v_addc_co_u32_e32 v5, vcc, v1, v2, vcc
	global_store_dwordx2 v[4:5], v[18:19], off
	buffer_wbl2
	s_waitcnt vmcnt(0)
	global_atomic_cmpswap_x2 v[2:3], v8, v[16:19], s[10:11] offset:32 glc
	s_waitcnt vmcnt(0)
	v_cmp_ne_u64_e32 vcc, v[2:3], v[18:19]
	s_and_saveexec_b64 s[14:15], vcc
	s_cbranch_execz .LBB1_267
; %bb.265:
	s_mov_b64 s[16:17], 0
.LBB1_266:                              ; =>This Inner Loop Header: Depth=1
	s_sleep 1
	global_store_dwordx2 v[4:5], v[2:3], off
	v_mov_b32_e32 v0, s6
	v_mov_b32_e32 v1, s7
	buffer_wbl2
	s_waitcnt vmcnt(0)
	global_atomic_cmpswap_x2 v[0:1], v8, v[0:3], s[10:11] offset:32 glc
	s_waitcnt vmcnt(0)
	v_cmp_eq_u64_e32 vcc, v[0:1], v[2:3]
	s_or_b64 s[16:17], vcc, s[16:17]
	v_pk_mov_b32 v[2:3], v[0:1], v[0:1] op_sel:[0,1]
	s_andn2_b64 exec, exec, s[16:17]
	s_cbranch_execnz .LBB1_266
.LBB1_267:
	s_or_b64 exec, exec, s[14:15]
	v_mov_b32_e32 v3, 0
	global_load_dwordx2 v[0:1], v3, s[10:11] offset:16
	s_mov_b64 s[14:15], exec
	v_mbcnt_lo_u32_b32 v2, s14, 0
	v_mbcnt_hi_u32_b32 v2, s15, v2
	v_cmp_eq_u32_e32 vcc, 0, v2
	s_and_saveexec_b64 s[16:17], vcc
	s_cbranch_execz .LBB1_269
; %bb.268:
	s_bcnt1_i32_b64 s14, s[14:15]
	v_mov_b32_e32 v2, s14
	buffer_wbl2
	s_waitcnt vmcnt(0)
	global_atomic_add_x2 v[0:1], v[2:3], off offset:8
.LBB1_269:
	s_or_b64 exec, exec, s[16:17]
	s_waitcnt vmcnt(0)
	global_load_dwordx2 v[2:3], v[0:1], off offset:16
	s_waitcnt vmcnt(0)
	v_cmp_eq_u64_e32 vcc, 0, v[2:3]
	s_cbranch_vccnz .LBB1_271
; %bb.270:
	global_load_dword v0, v[0:1], off offset:24
	v_mov_b32_e32 v1, 0
	buffer_wbl2
	s_waitcnt vmcnt(0)
	global_store_dwordx2 v[2:3], v[0:1], off
	v_and_b32_e32 v0, 0xffffff, v0
	v_readfirstlane_b32 m0, v0
	s_sendmsg sendmsg(MSG_INTERRUPT)
.LBB1_271:
	s_or_b64 exec, exec, s[12:13]
	s_branch .LBB1_275
.LBB1_272:                              ;   in Loop: Header=BB1_275 Depth=1
	s_or_b64 exec, exec, s[12:13]
	v_readfirstlane_b32 s12, v0
	s_cmp_eq_u32 s12, 0
	s_cbranch_scc1 .LBB1_274
; %bb.273:                              ;   in Loop: Header=BB1_275 Depth=1
	s_sleep 1
	s_cbranch_execnz .LBB1_275
	s_branch .LBB1_277
.LBB1_274:
	s_branch .LBB1_277
.LBB1_275:                              ; =>This Inner Loop Header: Depth=1
	v_mov_b32_e32 v0, 1
	s_and_saveexec_b64 s[12:13], s[4:5]
	s_cbranch_execz .LBB1_272
; %bb.276:                              ;   in Loop: Header=BB1_275 Depth=1
	global_load_dword v0, v[12:13], off offset:20 glc
	s_waitcnt vmcnt(0)
	buffer_invl2
	buffer_wbinvl1_vol
	v_and_b32_e32 v0, 1, v0
	s_branch .LBB1_272
.LBB1_277:
	global_load_dwordx2 v[0:1], v[14:15], off
	s_and_saveexec_b64 s[12:13], s[4:5]
	s_cbranch_execz .LBB1_280
; %bb.278:
	v_mov_b32_e32 v10, 0
	global_load_dwordx2 v[8:9], v10, s[10:11] offset:40
	global_load_dwordx2 v[12:13], v10, s[10:11] offset:24 glc
	global_load_dwordx2 v[14:15], v10, s[10:11]
	v_mov_b32_e32 v3, s7
	s_mov_b64 s[4:5], 0
	s_waitcnt vmcnt(2)
	v_add_co_u32_e32 v5, vcc, 1, v8
	v_addc_co_u32_e32 v11, vcc, 0, v9, vcc
	v_add_co_u32_e32 v2, vcc, s6, v5
	v_addc_co_u32_e32 v3, vcc, v11, v3, vcc
	v_cmp_eq_u64_e32 vcc, 0, v[2:3]
	v_cndmask_b32_e32 v3, v3, v11, vcc
	v_cndmask_b32_e32 v2, v2, v5, vcc
	v_and_b32_e32 v5, v3, v9
	v_and_b32_e32 v8, v2, v8
	v_mul_lo_u32 v5, v5, 24
	v_mul_hi_u32 v9, v8, 24
	v_mul_lo_u32 v8, v8, 24
	v_add_u32_e32 v5, v9, v5
	s_waitcnt vmcnt(0)
	v_add_co_u32_e32 v8, vcc, v14, v8
	v_addc_co_u32_e32 v9, vcc, v15, v5, vcc
	v_mov_b32_e32 v4, v12
	global_store_dwordx2 v[8:9], v[12:13], off
	v_mov_b32_e32 v5, v13
	buffer_wbl2
	s_waitcnt vmcnt(0)
	global_atomic_cmpswap_x2 v[4:5], v10, v[2:5], s[10:11] offset:24 glc
	s_waitcnt vmcnt(0)
	v_cmp_ne_u64_e32 vcc, v[4:5], v[12:13]
	s_and_b64 exec, exec, vcc
	s_cbranch_execz .LBB1_280
.LBB1_279:                              ; =>This Inner Loop Header: Depth=1
	s_sleep 1
	global_store_dwordx2 v[8:9], v[4:5], off
	buffer_wbl2
	s_waitcnt vmcnt(0)
	global_atomic_cmpswap_x2 v[12:13], v10, v[2:5], s[10:11] offset:24 glc
	s_waitcnt vmcnt(0)
	v_cmp_eq_u64_e32 vcc, v[12:13], v[4:5]
	s_or_b64 s[4:5], vcc, s[4:5]
	v_pk_mov_b32 v[4:5], v[12:13], v[12:13] op_sel:[0,1]
	s_andn2_b64 exec, exec, s[4:5]
	s_cbranch_execnz .LBB1_279
.LBB1_280:
	s_or_b64 exec, exec, s[12:13]
	s_mov_b64 s[4:5], 0
	v_pk_mov_b32 v[4:5], v[34:35], v[34:35] op_sel:[0,1]
.LBB1_281:                              ; =>This Inner Loop Header: Depth=1
	flat_load_ubyte v8, v[4:5]
	v_add_co_u32_e32 v2, vcc, 1, v4
	v_addc_co_u32_e32 v3, vcc, 0, v5, vcc
	v_pk_mov_b32 v[4:5], v[2:3], v[2:3] op_sel:[0,1]
	s_waitcnt vmcnt(0) lgkmcnt(0)
	v_cmp_eq_u16_e32 vcc, 0, v8
	s_or_b64 s[4:5], vcc, s[4:5]
	s_andn2_b64 exec, exec, s[4:5]
	s_cbranch_execnz .LBB1_281
; %bb.282:
	s_or_b64 exec, exec, s[4:5]
	s_mov_b64 s[6:7], 0
	v_cmp_ne_u64_e32 vcc, 0, v[34:35]
	s_and_saveexec_b64 s[4:5], vcc
	s_xor_b64 s[12:13], exec, s[4:5]
	s_cbranch_execz .LBB1_368
; %bb.283:
	v_sub_u32_e32 v28, v2, v34
	v_ashrrev_i32_e32 v29, 31, v28
	v_and_b32_e32 v30, 2, v0
	v_mov_b32_e32 v33, 0
	v_and_b32_e32 v0, -3, v0
	s_mov_b32 s22, 0
	s_movk_i32 s23, 0xff1f
	v_mov_b32_e32 v4, 2
	v_mov_b32_e32 v5, 1
	s_branch .LBB1_285
.LBB1_284:                              ;   in Loop: Header=BB1_285 Depth=1
	s_or_b64 exec, exec, s[16:17]
	v_sub_co_u32_e32 v28, vcc, v28, v36
	v_subb_co_u32_e32 v29, vcc, v29, v37, vcc
	v_cmp_eq_u64_e32 vcc, 0, v[28:29]
	s_or_b64 s[6:7], vcc, s[6:7]
	v_add_co_u32_e32 v34, vcc, v34, v36
	v_addc_co_u32_e32 v35, vcc, v35, v37, vcc
	s_andn2_b64 exec, exec, s[6:7]
	s_cbranch_execz .LBB1_367
.LBB1_285:                              ; =>This Loop Header: Depth=1
                                        ;     Child Loop BB1_288 Depth 2
                                        ;     Child Loop BB1_296 Depth 2
	;; [unrolled: 1-line block ×11, first 2 shown]
	v_cmp_gt_u64_e32 vcc, 56, v[28:29]
	v_cndmask_b32_e32 v37, 0, v29, vcc
	v_cndmask_b32_e32 v36, 56, v28, vcc
	v_cmp_gt_u64_e32 vcc, 8, v[28:29]
                                        ; implicit-def: $vgpr10_vgpr11
                                        ; implicit-def: $sgpr14
	s_and_saveexec_b64 s[4:5], vcc
	s_xor_b64 s[4:5], exec, s[4:5]
	s_cbranch_execz .LBB1_291
; %bb.286:                              ;   in Loop: Header=BB1_285 Depth=1
	s_mov_b64 s[16:17], 0
	v_cmp_ne_u64_e32 vcc, 0, v[28:29]
	v_pk_mov_b32 v[10:11], 0, 0
	s_and_saveexec_b64 s[14:15], vcc
	s_cbranch_execz .LBB1_290
; %bb.287:                              ;   in Loop: Header=BB1_285 Depth=1
	s_waitcnt vmcnt(0)
	v_lshlrev_b64 v[2:3], 3, v[36:37]
	v_pk_mov_b32 v[10:11], 0, 0
	v_pk_mov_b32 v[8:9], v[34:35], v[34:35] op_sel:[0,1]
	s_mov_b64 s[18:19], 0
.LBB1_288:                              ;   Parent Loop BB1_285 Depth=1
                                        ; =>  This Inner Loop Header: Depth=2
	flat_load_ubyte v3, v[8:9]
	v_mov_b32_e32 v13, s22
	v_add_co_u32_e32 v8, vcc, 1, v8
	v_addc_co_u32_e32 v9, vcc, 0, v9, vcc
	s_waitcnt vmcnt(0) lgkmcnt(0)
	v_and_b32_e32 v12, 0xffff, v3
	v_lshlrev_b64 v[12:13], s18, v[12:13]
	s_add_u32 s18, s18, 8
	s_addc_u32 s19, s19, 0
	v_cmp_eq_u32_e32 vcc, s18, v2
	v_or_b32_e32 v11, v13, v11
	s_or_b64 s[16:17], vcc, s[16:17]
	v_or_b32_e32 v10, v12, v10
	s_andn2_b64 exec, exec, s[16:17]
	s_cbranch_execnz .LBB1_288
; %bb.289:                              ;   in Loop: Header=BB1_285 Depth=1
	s_or_b64 exec, exec, s[16:17]
.LBB1_290:                              ;   in Loop: Header=BB1_285 Depth=1
	s_or_b64 exec, exec, s[14:15]
	s_mov_b32 s14, 0
.LBB1_291:                              ;   in Loop: Header=BB1_285 Depth=1
	s_or_saveexec_b64 s[4:5], s[4:5]
	v_mov_b32_e32 v8, s14
	s_waitcnt vmcnt(0)
	v_pk_mov_b32 v[2:3], v[34:35], v[34:35] op_sel:[0,1]
	s_xor_b64 exec, exec, s[4:5]
	s_cbranch_execz .LBB1_293
; %bb.292:                              ;   in Loop: Header=BB1_285 Depth=1
	flat_load_dwordx2 v[2:3], v[34:35]
	v_add_u32_e32 v8, -8, v36
	s_waitcnt vmcnt(0) lgkmcnt(0)
	v_and_b32_e32 v9, 0xff, v3
	v_and_b32_e32 v11, 0xff00, v3
	;; [unrolled: 1-line block ×4, first 2 shown]
	v_or3_b32 v10, v2, 0, 0
	v_or_b32_e32 v2, v9, v11
	v_or3_b32 v11, v2, v12, v3
	v_add_co_u32_e32 v2, vcc, 8, v34
	v_addc_co_u32_e32 v3, vcc, 0, v35, vcc
.LBB1_293:                              ;   in Loop: Header=BB1_285 Depth=1
	s_or_b64 exec, exec, s[4:5]
	v_cmp_gt_u32_e32 vcc, 8, v8
                                        ; implicit-def: $vgpr12_vgpr13
                                        ; implicit-def: $sgpr14
	s_and_saveexec_b64 s[4:5], vcc
	s_xor_b64 s[4:5], exec, s[4:5]
	s_cbranch_execz .LBB1_299
; %bb.294:                              ;   in Loop: Header=BB1_285 Depth=1
	v_cmp_ne_u32_e32 vcc, 0, v8
	v_pk_mov_b32 v[12:13], 0, 0
	s_and_saveexec_b64 s[14:15], vcc
	s_cbranch_execz .LBB1_298
; %bb.295:                              ;   in Loop: Header=BB1_285 Depth=1
	s_mov_b64 s[16:17], 0
	v_pk_mov_b32 v[12:13], 0, 0
	s_mov_b64 s[18:19], 0
	s_mov_b64 s[20:21], 0
.LBB1_296:                              ;   Parent Loop BB1_285 Depth=1
                                        ; =>  This Inner Loop Header: Depth=2
	v_mov_b32_e32 v9, s21
	v_add_co_u32_e32 v14, vcc, s20, v2
	v_addc_co_u32_e32 v15, vcc, v3, v9, vcc
	flat_load_ubyte v9, v[14:15]
	s_add_u32 s20, s20, 1
	v_mov_b32_e32 v15, s22
	s_addc_u32 s21, s21, 0
	v_cmp_eq_u32_e32 vcc, s20, v8
	s_waitcnt vmcnt(0) lgkmcnt(0)
	v_and_b32_e32 v14, 0xffff, v9
	v_lshlrev_b64 v[14:15], s18, v[14:15]
	s_add_u32 s18, s18, 8
	s_addc_u32 s19, s19, 0
	v_or_b32_e32 v13, v15, v13
	s_or_b64 s[16:17], vcc, s[16:17]
	v_or_b32_e32 v12, v14, v12
	s_andn2_b64 exec, exec, s[16:17]
	s_cbranch_execnz .LBB1_296
; %bb.297:                              ;   in Loop: Header=BB1_285 Depth=1
	s_or_b64 exec, exec, s[16:17]
.LBB1_298:                              ;   in Loop: Header=BB1_285 Depth=1
	s_or_b64 exec, exec, s[14:15]
	s_mov_b32 s14, 0
                                        ; implicit-def: $vgpr8
.LBB1_299:                              ;   in Loop: Header=BB1_285 Depth=1
	s_or_saveexec_b64 s[4:5], s[4:5]
	v_mov_b32_e32 v9, s14
	s_xor_b64 exec, exec, s[4:5]
	s_cbranch_execz .LBB1_301
; %bb.300:                              ;   in Loop: Header=BB1_285 Depth=1
	flat_load_dwordx2 v[12:13], v[2:3]
	v_add_u32_e32 v9, -8, v8
	v_add_co_u32_e32 v2, vcc, 8, v2
	v_addc_co_u32_e32 v3, vcc, 0, v3, vcc
	s_waitcnt vmcnt(0) lgkmcnt(0)
	v_and_b32_e32 v8, 0xff, v13
	v_and_b32_e32 v14, 0xff00, v13
	;; [unrolled: 1-line block ×4, first 2 shown]
	v_or_b32_e32 v8, v8, v14
	v_or3_b32 v12, v12, 0, 0
	v_or3_b32 v13, v8, v15, v13
.LBB1_301:                              ;   in Loop: Header=BB1_285 Depth=1
	s_or_b64 exec, exec, s[4:5]
	v_cmp_gt_u32_e32 vcc, 8, v9
                                        ; implicit-def: $sgpr14
	s_and_saveexec_b64 s[4:5], vcc
	s_xor_b64 s[4:5], exec, s[4:5]
	s_cbranch_execz .LBB1_307
; %bb.302:                              ;   in Loop: Header=BB1_285 Depth=1
	v_cmp_ne_u32_e32 vcc, 0, v9
	v_pk_mov_b32 v[14:15], 0, 0
	s_and_saveexec_b64 s[14:15], vcc
	s_cbranch_execz .LBB1_306
; %bb.303:                              ;   in Loop: Header=BB1_285 Depth=1
	s_mov_b64 s[16:17], 0
	v_pk_mov_b32 v[14:15], 0, 0
	s_mov_b64 s[18:19], 0
	s_mov_b64 s[20:21], 0
.LBB1_304:                              ;   Parent Loop BB1_285 Depth=1
                                        ; =>  This Inner Loop Header: Depth=2
	v_mov_b32_e32 v8, s21
	v_add_co_u32_e32 v16, vcc, s20, v2
	v_addc_co_u32_e32 v17, vcc, v3, v8, vcc
	flat_load_ubyte v8, v[16:17]
	s_add_u32 s20, s20, 1
	v_mov_b32_e32 v17, s22
	s_addc_u32 s21, s21, 0
	v_cmp_eq_u32_e32 vcc, s20, v9
	s_waitcnt vmcnt(0) lgkmcnt(0)
	v_and_b32_e32 v16, 0xffff, v8
	v_lshlrev_b64 v[16:17], s18, v[16:17]
	s_add_u32 s18, s18, 8
	s_addc_u32 s19, s19, 0
	v_or_b32_e32 v15, v17, v15
	s_or_b64 s[16:17], vcc, s[16:17]
	v_or_b32_e32 v14, v16, v14
	s_andn2_b64 exec, exec, s[16:17]
	s_cbranch_execnz .LBB1_304
; %bb.305:                              ;   in Loop: Header=BB1_285 Depth=1
	s_or_b64 exec, exec, s[16:17]
.LBB1_306:                              ;   in Loop: Header=BB1_285 Depth=1
	s_or_b64 exec, exec, s[14:15]
	s_mov_b32 s14, 0
                                        ; implicit-def: $vgpr9
.LBB1_307:                              ;   in Loop: Header=BB1_285 Depth=1
	s_or_saveexec_b64 s[4:5], s[4:5]
	v_mov_b32_e32 v8, s14
	s_xor_b64 exec, exec, s[4:5]
	s_cbranch_execz .LBB1_309
; %bb.308:                              ;   in Loop: Header=BB1_285 Depth=1
	flat_load_dwordx2 v[14:15], v[2:3]
	v_add_u32_e32 v8, -8, v9
	v_add_co_u32_e32 v2, vcc, 8, v2
	v_addc_co_u32_e32 v3, vcc, 0, v3, vcc
	s_waitcnt vmcnt(0) lgkmcnt(0)
	v_and_b32_e32 v9, 0xff, v15
	v_and_b32_e32 v16, 0xff00, v15
	;; [unrolled: 1-line block ×4, first 2 shown]
	v_or_b32_e32 v9, v9, v16
	v_or3_b32 v14, v14, 0, 0
	v_or3_b32 v15, v9, v17, v15
.LBB1_309:                              ;   in Loop: Header=BB1_285 Depth=1
	s_or_b64 exec, exec, s[4:5]
	v_cmp_gt_u32_e32 vcc, 8, v8
                                        ; implicit-def: $vgpr16_vgpr17
                                        ; implicit-def: $sgpr14
	s_and_saveexec_b64 s[4:5], vcc
	s_xor_b64 s[4:5], exec, s[4:5]
	s_cbranch_execz .LBB1_315
; %bb.310:                              ;   in Loop: Header=BB1_285 Depth=1
	v_cmp_ne_u32_e32 vcc, 0, v8
	v_pk_mov_b32 v[16:17], 0, 0
	s_and_saveexec_b64 s[14:15], vcc
	s_cbranch_execz .LBB1_314
; %bb.311:                              ;   in Loop: Header=BB1_285 Depth=1
	s_mov_b64 s[16:17], 0
	v_pk_mov_b32 v[16:17], 0, 0
	s_mov_b64 s[18:19], 0
	s_mov_b64 s[20:21], 0
.LBB1_312:                              ;   Parent Loop BB1_285 Depth=1
                                        ; =>  This Inner Loop Header: Depth=2
	v_mov_b32_e32 v9, s21
	v_add_co_u32_e32 v18, vcc, s20, v2
	v_addc_co_u32_e32 v19, vcc, v3, v9, vcc
	flat_load_ubyte v9, v[18:19]
	s_add_u32 s20, s20, 1
	v_mov_b32_e32 v19, s22
	s_addc_u32 s21, s21, 0
	v_cmp_eq_u32_e32 vcc, s20, v8
	s_waitcnt vmcnt(0) lgkmcnt(0)
	v_and_b32_e32 v18, 0xffff, v9
	v_lshlrev_b64 v[18:19], s18, v[18:19]
	s_add_u32 s18, s18, 8
	s_addc_u32 s19, s19, 0
	v_or_b32_e32 v17, v19, v17
	s_or_b64 s[16:17], vcc, s[16:17]
	v_or_b32_e32 v16, v18, v16
	s_andn2_b64 exec, exec, s[16:17]
	s_cbranch_execnz .LBB1_312
; %bb.313:                              ;   in Loop: Header=BB1_285 Depth=1
	s_or_b64 exec, exec, s[16:17]
.LBB1_314:                              ;   in Loop: Header=BB1_285 Depth=1
	s_or_b64 exec, exec, s[14:15]
	s_mov_b32 s14, 0
                                        ; implicit-def: $vgpr8
.LBB1_315:                              ;   in Loop: Header=BB1_285 Depth=1
	s_or_saveexec_b64 s[4:5], s[4:5]
	v_mov_b32_e32 v9, s14
	s_xor_b64 exec, exec, s[4:5]
	s_cbranch_execz .LBB1_317
; %bb.316:                              ;   in Loop: Header=BB1_285 Depth=1
	flat_load_dwordx2 v[16:17], v[2:3]
	v_add_u32_e32 v9, -8, v8
	v_add_co_u32_e32 v2, vcc, 8, v2
	v_addc_co_u32_e32 v3, vcc, 0, v3, vcc
	s_waitcnt vmcnt(0) lgkmcnt(0)
	v_and_b32_e32 v8, 0xff, v17
	v_and_b32_e32 v18, 0xff00, v17
	v_and_b32_e32 v19, 0xff0000, v17
	v_and_b32_e32 v17, 0xff000000, v17
	v_or_b32_e32 v8, v8, v18
	v_or3_b32 v16, v16, 0, 0
	v_or3_b32 v17, v8, v19, v17
.LBB1_317:                              ;   in Loop: Header=BB1_285 Depth=1
	s_or_b64 exec, exec, s[4:5]
	v_cmp_gt_u32_e32 vcc, 8, v9
                                        ; implicit-def: $sgpr14
	s_and_saveexec_b64 s[4:5], vcc
	s_xor_b64 s[4:5], exec, s[4:5]
	s_cbranch_execz .LBB1_323
; %bb.318:                              ;   in Loop: Header=BB1_285 Depth=1
	v_cmp_ne_u32_e32 vcc, 0, v9
	v_pk_mov_b32 v[18:19], 0, 0
	s_and_saveexec_b64 s[14:15], vcc
	s_cbranch_execz .LBB1_322
; %bb.319:                              ;   in Loop: Header=BB1_285 Depth=1
	s_mov_b64 s[16:17], 0
	v_pk_mov_b32 v[18:19], 0, 0
	s_mov_b64 s[18:19], 0
	s_mov_b64 s[20:21], 0
.LBB1_320:                              ;   Parent Loop BB1_285 Depth=1
                                        ; =>  This Inner Loop Header: Depth=2
	v_mov_b32_e32 v8, s21
	v_add_co_u32_e32 v20, vcc, s20, v2
	v_addc_co_u32_e32 v21, vcc, v3, v8, vcc
	flat_load_ubyte v8, v[20:21]
	s_add_u32 s20, s20, 1
	v_mov_b32_e32 v21, s22
	s_addc_u32 s21, s21, 0
	v_cmp_eq_u32_e32 vcc, s20, v9
	s_waitcnt vmcnt(0) lgkmcnt(0)
	v_and_b32_e32 v20, 0xffff, v8
	v_lshlrev_b64 v[20:21], s18, v[20:21]
	s_add_u32 s18, s18, 8
	s_addc_u32 s19, s19, 0
	v_or_b32_e32 v19, v21, v19
	s_or_b64 s[16:17], vcc, s[16:17]
	v_or_b32_e32 v18, v20, v18
	s_andn2_b64 exec, exec, s[16:17]
	s_cbranch_execnz .LBB1_320
; %bb.321:                              ;   in Loop: Header=BB1_285 Depth=1
	s_or_b64 exec, exec, s[16:17]
.LBB1_322:                              ;   in Loop: Header=BB1_285 Depth=1
	s_or_b64 exec, exec, s[14:15]
	s_mov_b32 s14, 0
                                        ; implicit-def: $vgpr9
.LBB1_323:                              ;   in Loop: Header=BB1_285 Depth=1
	s_or_saveexec_b64 s[4:5], s[4:5]
	v_mov_b32_e32 v8, s14
	s_xor_b64 exec, exec, s[4:5]
	s_cbranch_execz .LBB1_325
; %bb.324:                              ;   in Loop: Header=BB1_285 Depth=1
	flat_load_dwordx2 v[18:19], v[2:3]
	v_add_u32_e32 v8, -8, v9
	v_add_co_u32_e32 v2, vcc, 8, v2
	v_addc_co_u32_e32 v3, vcc, 0, v3, vcc
	s_waitcnt vmcnt(0) lgkmcnt(0)
	v_and_b32_e32 v9, 0xff, v19
	v_and_b32_e32 v20, 0xff00, v19
	v_and_b32_e32 v21, 0xff0000, v19
	v_and_b32_e32 v19, 0xff000000, v19
	v_or_b32_e32 v9, v9, v20
	v_or3_b32 v18, v18, 0, 0
	v_or3_b32 v19, v9, v21, v19
.LBB1_325:                              ;   in Loop: Header=BB1_285 Depth=1
	s_or_b64 exec, exec, s[4:5]
	v_cmp_gt_u32_e32 vcc, 8, v8
                                        ; implicit-def: $vgpr20_vgpr21
                                        ; implicit-def: $sgpr14
	s_and_saveexec_b64 s[4:5], vcc
	s_xor_b64 s[4:5], exec, s[4:5]
	s_cbranch_execz .LBB1_331
; %bb.326:                              ;   in Loop: Header=BB1_285 Depth=1
	v_cmp_ne_u32_e32 vcc, 0, v8
	v_pk_mov_b32 v[20:21], 0, 0
	s_and_saveexec_b64 s[14:15], vcc
	s_cbranch_execz .LBB1_330
; %bb.327:                              ;   in Loop: Header=BB1_285 Depth=1
	s_mov_b64 s[16:17], 0
	v_pk_mov_b32 v[20:21], 0, 0
	s_mov_b64 s[18:19], 0
	s_mov_b64 s[20:21], 0
.LBB1_328:                              ;   Parent Loop BB1_285 Depth=1
                                        ; =>  This Inner Loop Header: Depth=2
	v_mov_b32_e32 v9, s21
	v_add_co_u32_e32 v22, vcc, s20, v2
	v_addc_co_u32_e32 v23, vcc, v3, v9, vcc
	flat_load_ubyte v9, v[22:23]
	s_add_u32 s20, s20, 1
	v_mov_b32_e32 v23, s22
	s_addc_u32 s21, s21, 0
	v_cmp_eq_u32_e32 vcc, s20, v8
	s_waitcnt vmcnt(0) lgkmcnt(0)
	v_and_b32_e32 v22, 0xffff, v9
	v_lshlrev_b64 v[22:23], s18, v[22:23]
	s_add_u32 s18, s18, 8
	s_addc_u32 s19, s19, 0
	v_or_b32_e32 v21, v23, v21
	s_or_b64 s[16:17], vcc, s[16:17]
	v_or_b32_e32 v20, v22, v20
	s_andn2_b64 exec, exec, s[16:17]
	s_cbranch_execnz .LBB1_328
; %bb.329:                              ;   in Loop: Header=BB1_285 Depth=1
	s_or_b64 exec, exec, s[16:17]
.LBB1_330:                              ;   in Loop: Header=BB1_285 Depth=1
	s_or_b64 exec, exec, s[14:15]
	s_mov_b32 s14, 0
                                        ; implicit-def: $vgpr8
.LBB1_331:                              ;   in Loop: Header=BB1_285 Depth=1
	s_or_saveexec_b64 s[4:5], s[4:5]
	v_mov_b32_e32 v9, s14
	s_xor_b64 exec, exec, s[4:5]
	s_cbranch_execz .LBB1_333
; %bb.332:                              ;   in Loop: Header=BB1_285 Depth=1
	flat_load_dwordx2 v[20:21], v[2:3]
	v_add_u32_e32 v9, -8, v8
	v_add_co_u32_e32 v2, vcc, 8, v2
	v_addc_co_u32_e32 v3, vcc, 0, v3, vcc
	s_waitcnt vmcnt(0) lgkmcnt(0)
	v_and_b32_e32 v8, 0xff, v21
	v_and_b32_e32 v22, 0xff00, v21
	;; [unrolled: 1-line block ×4, first 2 shown]
	v_or_b32_e32 v8, v8, v22
	v_or3_b32 v20, v20, 0, 0
	v_or3_b32 v21, v8, v23, v21
.LBB1_333:                              ;   in Loop: Header=BB1_285 Depth=1
	s_or_b64 exec, exec, s[4:5]
	v_cmp_gt_u32_e32 vcc, 8, v9
	s_and_saveexec_b64 s[4:5], vcc
	s_xor_b64 s[4:5], exec, s[4:5]
	s_cbranch_execz .LBB1_339
; %bb.334:                              ;   in Loop: Header=BB1_285 Depth=1
	v_cmp_ne_u32_e32 vcc, 0, v9
	v_pk_mov_b32 v[22:23], 0, 0
	s_and_saveexec_b64 s[14:15], vcc
	s_cbranch_execz .LBB1_338
; %bb.335:                              ;   in Loop: Header=BB1_285 Depth=1
	s_mov_b64 s[16:17], 0
	v_pk_mov_b32 v[22:23], 0, 0
	s_mov_b64 s[18:19], 0
.LBB1_336:                              ;   Parent Loop BB1_285 Depth=1
                                        ; =>  This Inner Loop Header: Depth=2
	flat_load_ubyte v8, v[2:3]
	v_mov_b32_e32 v25, s22
	v_add_co_u32_e32 v2, vcc, 1, v2
	v_add_u32_e32 v9, -1, v9
	v_addc_co_u32_e32 v3, vcc, 0, v3, vcc
	v_cmp_eq_u32_e32 vcc, 0, v9
	s_waitcnt vmcnt(0) lgkmcnt(0)
	v_and_b32_e32 v24, 0xffff, v8
	v_lshlrev_b64 v[24:25], s18, v[24:25]
	s_add_u32 s18, s18, 8
	s_addc_u32 s19, s19, 0
	v_or_b32_e32 v23, v25, v23
	s_or_b64 s[16:17], vcc, s[16:17]
	v_or_b32_e32 v22, v24, v22
	s_andn2_b64 exec, exec, s[16:17]
	s_cbranch_execnz .LBB1_336
; %bb.337:                              ;   in Loop: Header=BB1_285 Depth=1
	s_or_b64 exec, exec, s[16:17]
.LBB1_338:                              ;   in Loop: Header=BB1_285 Depth=1
	s_or_b64 exec, exec, s[14:15]
                                        ; implicit-def: $vgpr2_vgpr3
.LBB1_339:                              ;   in Loop: Header=BB1_285 Depth=1
	s_andn2_saveexec_b64 s[4:5], s[4:5]
	s_cbranch_execz .LBB1_341
; %bb.340:                              ;   in Loop: Header=BB1_285 Depth=1
	flat_load_dwordx2 v[2:3], v[2:3]
	s_waitcnt vmcnt(0) lgkmcnt(0)
	v_and_b32_e32 v8, 0xff, v3
	v_and_b32_e32 v9, 0xff00, v3
	;; [unrolled: 1-line block ×4, first 2 shown]
	v_or_b32_e32 v8, v8, v9
	v_or3_b32 v23, v8, v22, v3
	v_or3_b32 v22, v2, 0, 0
.LBB1_341:                              ;   in Loop: Header=BB1_285 Depth=1
	s_or_b64 exec, exec, s[4:5]
	v_readfirstlane_b32 s4, v53
	v_cmp_eq_u32_e64 s[4:5], s4, v53
	v_pk_mov_b32 v[2:3], 0, 0
	s_and_saveexec_b64 s[14:15], s[4:5]
	s_cbranch_execz .LBB1_347
; %bb.342:                              ;   in Loop: Header=BB1_285 Depth=1
	global_load_dwordx2 v[26:27], v33, s[10:11] offset:24 glc
	s_waitcnt vmcnt(0)
	buffer_invl2
	buffer_wbinvl1_vol
	global_load_dwordx2 v[2:3], v33, s[10:11] offset:40
	global_load_dwordx2 v[8:9], v33, s[10:11]
	s_waitcnt vmcnt(1)
	v_and_b32_e32 v2, v2, v26
	v_and_b32_e32 v3, v3, v27
	v_mul_lo_u32 v3, v3, 24
	v_mul_hi_u32 v24, v2, 24
	v_mul_lo_u32 v2, v2, 24
	v_add_u32_e32 v3, v24, v3
	s_waitcnt vmcnt(0)
	v_add_co_u32_e32 v2, vcc, v8, v2
	v_addc_co_u32_e32 v3, vcc, v9, v3, vcc
	global_load_dwordx2 v[24:25], v[2:3], off glc
	s_waitcnt vmcnt(0)
	global_atomic_cmpswap_x2 v[2:3], v33, v[24:27], s[10:11] offset:24 glc
	s_waitcnt vmcnt(0)
	buffer_invl2
	buffer_wbinvl1_vol
	v_cmp_ne_u64_e32 vcc, v[2:3], v[26:27]
	s_and_saveexec_b64 s[16:17], vcc
	s_cbranch_execz .LBB1_346
; %bb.343:                              ;   in Loop: Header=BB1_285 Depth=1
	s_mov_b64 s[18:19], 0
.LBB1_344:                              ;   Parent Loop BB1_285 Depth=1
                                        ; =>  This Inner Loop Header: Depth=2
	s_sleep 1
	global_load_dwordx2 v[8:9], v33, s[10:11] offset:40
	global_load_dwordx2 v[24:25], v33, s[10:11]
	v_pk_mov_b32 v[26:27], v[2:3], v[2:3] op_sel:[0,1]
	s_waitcnt vmcnt(1)
	v_and_b32_e32 v2, v8, v26
	s_waitcnt vmcnt(0)
	v_mad_u64_u32 v[2:3], s[20:21], v2, 24, v[24:25]
	v_and_b32_e32 v9, v9, v27
	v_mov_b32_e32 v8, v3
	v_mad_u64_u32 v[8:9], s[20:21], v9, 24, v[8:9]
	v_mov_b32_e32 v3, v8
	global_load_dwordx2 v[24:25], v[2:3], off glc
	s_waitcnt vmcnt(0)
	global_atomic_cmpswap_x2 v[2:3], v33, v[24:27], s[10:11] offset:24 glc
	s_waitcnt vmcnt(0)
	buffer_invl2
	buffer_wbinvl1_vol
	v_cmp_eq_u64_e32 vcc, v[2:3], v[26:27]
	s_or_b64 s[18:19], vcc, s[18:19]
	s_andn2_b64 exec, exec, s[18:19]
	s_cbranch_execnz .LBB1_344
; %bb.345:                              ;   in Loop: Header=BB1_285 Depth=1
	s_or_b64 exec, exec, s[18:19]
.LBB1_346:                              ;   in Loop: Header=BB1_285 Depth=1
	s_or_b64 exec, exec, s[16:17]
.LBB1_347:                              ;   in Loop: Header=BB1_285 Depth=1
	s_or_b64 exec, exec, s[14:15]
	global_load_dwordx2 v[8:9], v33, s[10:11] offset:40
	global_load_dwordx4 v[24:27], v33, s[10:11]
	v_readfirstlane_b32 s14, v2
	v_readfirstlane_b32 s15, v3
	s_mov_b64 s[16:17], exec
	s_waitcnt vmcnt(1)
	v_readfirstlane_b32 s18, v8
	v_readfirstlane_b32 s19, v9
	s_and_b64 s[18:19], s[14:15], s[18:19]
	s_mul_i32 s20, s19, 24
	s_mul_hi_u32 s21, s18, 24
	s_mul_i32 s24, s18, 24
	s_add_i32 s20, s21, s20
	v_mov_b32_e32 v2, s20
	s_waitcnt vmcnt(0)
	v_add_co_u32_e32 v38, vcc, s24, v24
	v_addc_co_u32_e32 v39, vcc, v25, v2, vcc
	s_and_saveexec_b64 s[20:21], s[4:5]
	s_cbranch_execz .LBB1_349
; %bb.348:                              ;   in Loop: Header=BB1_285 Depth=1
	v_pk_mov_b32 v[2:3], s[16:17], s[16:17] op_sel:[0,1]
	global_store_dwordx4 v[38:39], v[2:5], off offset:8
.LBB1_349:                              ;   in Loop: Header=BB1_285 Depth=1
	s_or_b64 exec, exec, s[20:21]
	s_lshl_b64 s[16:17], s[18:19], 12
	v_mov_b32_e32 v2, s17
	v_add_co_u32_e32 v26, vcc, s16, v26
	v_addc_co_u32_e32 v27, vcc, v27, v2, vcc
	v_or_b32_e32 v2, 0, v1
	v_cmp_lt_u64_e32 vcc, 56, v[28:29]
	v_or_b32_e32 v3, v0, v30
	v_cndmask_b32_e32 v9, v2, v1, vcc
	v_lshl_add_u32 v1, v36, 2, 28
	v_cndmask_b32_e32 v0, v3, v0, vcc
	v_and_b32_e32 v1, 0x1e0, v1
	v_and_or_b32 v8, v0, s23, v1
	v_readfirstlane_b32 s16, v26
	v_readfirstlane_b32 s17, v27
	s_nop 4
	global_store_dwordx4 v52, v[8:11], s[16:17]
	global_store_dwordx4 v52, v[12:15], s[16:17] offset:16
	global_store_dwordx4 v52, v[16:19], s[16:17] offset:32
	;; [unrolled: 1-line block ×3, first 2 shown]
	s_and_saveexec_b64 s[16:17], s[4:5]
	s_cbranch_execz .LBB1_357
; %bb.350:                              ;   in Loop: Header=BB1_285 Depth=1
	global_load_dwordx2 v[12:13], v33, s[10:11] offset:32 glc
	global_load_dwordx2 v[0:1], v33, s[10:11] offset:40
	v_mov_b32_e32 v10, s14
	v_mov_b32_e32 v11, s15
	s_waitcnt vmcnt(0)
	v_readfirstlane_b32 s18, v0
	v_readfirstlane_b32 s19, v1
	s_and_b64 s[18:19], s[18:19], s[14:15]
	s_mul_i32 s19, s19, 24
	s_mul_hi_u32 s20, s18, 24
	s_mul_i32 s18, s18, 24
	s_add_i32 s19, s20, s19
	v_mov_b32_e32 v0, s19
	v_add_co_u32_e32 v8, vcc, s18, v24
	v_addc_co_u32_e32 v9, vcc, v25, v0, vcc
	global_store_dwordx2 v[8:9], v[12:13], off
	buffer_wbl2
	s_waitcnt vmcnt(0)
	global_atomic_cmpswap_x2 v[2:3], v33, v[10:13], s[10:11] offset:32 glc
	s_waitcnt vmcnt(0)
	v_cmp_ne_u64_e32 vcc, v[2:3], v[12:13]
	s_and_saveexec_b64 s[18:19], vcc
	s_cbranch_execz .LBB1_353
; %bb.351:                              ;   in Loop: Header=BB1_285 Depth=1
	s_mov_b64 s[20:21], 0
.LBB1_352:                              ;   Parent Loop BB1_285 Depth=1
                                        ; =>  This Inner Loop Header: Depth=2
	s_sleep 1
	global_store_dwordx2 v[8:9], v[2:3], off
	v_mov_b32_e32 v0, s14
	v_mov_b32_e32 v1, s15
	buffer_wbl2
	s_waitcnt vmcnt(0)
	global_atomic_cmpswap_x2 v[0:1], v33, v[0:3], s[10:11] offset:32 glc
	s_waitcnt vmcnt(0)
	v_cmp_eq_u64_e32 vcc, v[0:1], v[2:3]
	s_or_b64 s[20:21], vcc, s[20:21]
	v_pk_mov_b32 v[2:3], v[0:1], v[0:1] op_sel:[0,1]
	s_andn2_b64 exec, exec, s[20:21]
	s_cbranch_execnz .LBB1_352
.LBB1_353:                              ;   in Loop: Header=BB1_285 Depth=1
	s_or_b64 exec, exec, s[18:19]
	global_load_dwordx2 v[0:1], v33, s[10:11] offset:16
	s_mov_b64 s[20:21], exec
	v_mbcnt_lo_u32_b32 v2, s20, 0
	v_mbcnt_hi_u32_b32 v2, s21, v2
	v_cmp_eq_u32_e32 vcc, 0, v2
	s_and_saveexec_b64 s[18:19], vcc
	s_cbranch_execz .LBB1_355
; %bb.354:                              ;   in Loop: Header=BB1_285 Depth=1
	s_bcnt1_i32_b64 s20, s[20:21]
	v_mov_b32_e32 v32, s20
	buffer_wbl2
	s_waitcnt vmcnt(0)
	global_atomic_add_x2 v[0:1], v[32:33], off offset:8
.LBB1_355:                              ;   in Loop: Header=BB1_285 Depth=1
	s_or_b64 exec, exec, s[18:19]
	s_waitcnt vmcnt(0)
	global_load_dwordx2 v[2:3], v[0:1], off offset:16
	s_waitcnt vmcnt(0)
	v_cmp_eq_u64_e32 vcc, 0, v[2:3]
	s_cbranch_vccnz .LBB1_357
; %bb.356:                              ;   in Loop: Header=BB1_285 Depth=1
	global_load_dword v32, v[0:1], off offset:24
	s_waitcnt vmcnt(0)
	v_and_b32_e32 v0, 0xffffff, v32
	v_readfirstlane_b32 m0, v0
	buffer_wbl2
	global_store_dwordx2 v[2:3], v[32:33], off
	s_sendmsg sendmsg(MSG_INTERRUPT)
.LBB1_357:                              ;   in Loop: Header=BB1_285 Depth=1
	s_or_b64 exec, exec, s[16:17]
	v_add_co_u32_e32 v0, vcc, v26, v52
	v_addc_co_u32_e32 v1, vcc, 0, v27, vcc
	s_branch .LBB1_361
.LBB1_358:                              ;   in Loop: Header=BB1_361 Depth=2
	s_or_b64 exec, exec, s[16:17]
	v_readfirstlane_b32 s16, v2
	s_cmp_eq_u32 s16, 0
	s_cbranch_scc1 .LBB1_360
; %bb.359:                              ;   in Loop: Header=BB1_361 Depth=2
	s_sleep 1
	s_cbranch_execnz .LBB1_361
	s_branch .LBB1_363
.LBB1_360:                              ;   in Loop: Header=BB1_285 Depth=1
	s_branch .LBB1_363
.LBB1_361:                              ;   Parent Loop BB1_285 Depth=1
                                        ; =>  This Inner Loop Header: Depth=2
	v_mov_b32_e32 v2, 1
	s_and_saveexec_b64 s[16:17], s[4:5]
	s_cbranch_execz .LBB1_358
; %bb.362:                              ;   in Loop: Header=BB1_361 Depth=2
	global_load_dword v2, v[38:39], off offset:20 glc
	s_waitcnt vmcnt(0)
	buffer_invl2
	buffer_wbinvl1_vol
	v_and_b32_e32 v2, 1, v2
	s_branch .LBB1_358
.LBB1_363:                              ;   in Loop: Header=BB1_285 Depth=1
	global_load_dwordx4 v[0:3], v[0:1], off
	s_and_saveexec_b64 s[16:17], s[4:5]
	s_cbranch_execz .LBB1_284
; %bb.364:                              ;   in Loop: Header=BB1_285 Depth=1
	global_load_dwordx2 v[2:3], v33, s[10:11] offset:40
	global_load_dwordx2 v[12:13], v33, s[10:11] offset:24 glc
	global_load_dwordx2 v[14:15], v33, s[10:11]
	v_mov_b32_e32 v9, s15
	s_waitcnt vmcnt(2)
	v_add_co_u32_e32 v11, vcc, 1, v2
	v_addc_co_u32_e32 v16, vcc, 0, v3, vcc
	v_add_co_u32_e32 v8, vcc, s14, v11
	v_addc_co_u32_e32 v9, vcc, v16, v9, vcc
	v_cmp_eq_u64_e32 vcc, 0, v[8:9]
	v_cndmask_b32_e32 v9, v9, v16, vcc
	v_cndmask_b32_e32 v8, v8, v11, vcc
	v_and_b32_e32 v3, v9, v3
	v_and_b32_e32 v2, v8, v2
	v_mul_lo_u32 v3, v3, 24
	v_mul_hi_u32 v11, v2, 24
	v_mul_lo_u32 v2, v2, 24
	v_add_u32_e32 v3, v11, v3
	s_waitcnt vmcnt(0)
	v_add_co_u32_e32 v2, vcc, v14, v2
	v_addc_co_u32_e32 v3, vcc, v15, v3, vcc
	v_mov_b32_e32 v10, v12
	global_store_dwordx2 v[2:3], v[12:13], off
	v_mov_b32_e32 v11, v13
	buffer_wbl2
	s_waitcnt vmcnt(0)
	global_atomic_cmpswap_x2 v[10:11], v33, v[8:11], s[10:11] offset:24 glc
	s_waitcnt vmcnt(0)
	v_cmp_ne_u64_e32 vcc, v[10:11], v[12:13]
	s_and_b64 exec, exec, vcc
	s_cbranch_execz .LBB1_284
; %bb.365:                              ;   in Loop: Header=BB1_285 Depth=1
	s_mov_b64 s[4:5], 0
.LBB1_366:                              ;   Parent Loop BB1_285 Depth=1
                                        ; =>  This Inner Loop Header: Depth=2
	s_sleep 1
	global_store_dwordx2 v[2:3], v[10:11], off
	buffer_wbl2
	s_waitcnt vmcnt(0)
	global_atomic_cmpswap_x2 v[12:13], v33, v[8:11], s[10:11] offset:24 glc
	s_waitcnt vmcnt(0)
	v_cmp_eq_u64_e32 vcc, v[12:13], v[10:11]
	s_or_b64 s[4:5], vcc, s[4:5]
	v_pk_mov_b32 v[10:11], v[12:13], v[12:13] op_sel:[0,1]
	s_andn2_b64 exec, exec, s[4:5]
	s_cbranch_execnz .LBB1_366
	s_branch .LBB1_284
.LBB1_367:
	s_or_b64 exec, exec, s[6:7]
                                        ; implicit-def: $vgpr52
                                        ; implicit-def: $vgpr53
.LBB1_368:
	s_andn2_saveexec_b64 s[6:7], s[12:13]
	s_cbranch_execz .LBB1_395
; %bb.369:
	v_readfirstlane_b32 s4, v53
	v_cmp_eq_u32_e64 s[4:5], s4, v53
	v_pk_mov_b32 v[4:5], 0, 0
	s_and_saveexec_b64 s[12:13], s[4:5]
	s_cbranch_execz .LBB1_375
; %bb.370:
	s_waitcnt vmcnt(0)
	v_mov_b32_e32 v2, 0
	global_load_dwordx2 v[10:11], v2, s[10:11] offset:24 glc
	s_waitcnt vmcnt(0)
	buffer_invl2
	buffer_wbinvl1_vol
	global_load_dwordx2 v[4:5], v2, s[10:11] offset:40
	global_load_dwordx2 v[8:9], v2, s[10:11]
	s_waitcnt vmcnt(1)
	v_and_b32_e32 v3, v4, v10
	v_and_b32_e32 v4, v5, v11
	v_mul_lo_u32 v4, v4, 24
	v_mul_hi_u32 v5, v3, 24
	v_mul_lo_u32 v3, v3, 24
	v_add_u32_e32 v5, v5, v4
	s_waitcnt vmcnt(0)
	v_add_co_u32_e32 v4, vcc, v8, v3
	v_addc_co_u32_e32 v5, vcc, v9, v5, vcc
	global_load_dwordx2 v[8:9], v[4:5], off glc
	s_waitcnt vmcnt(0)
	global_atomic_cmpswap_x2 v[4:5], v2, v[8:11], s[10:11] offset:24 glc
	s_waitcnt vmcnt(0)
	buffer_invl2
	buffer_wbinvl1_vol
	v_cmp_ne_u64_e32 vcc, v[4:5], v[10:11]
	s_and_saveexec_b64 s[14:15], vcc
	s_cbranch_execz .LBB1_374
; %bb.371:
	s_mov_b64 s[16:17], 0
.LBB1_372:                              ; =>This Inner Loop Header: Depth=1
	s_sleep 1
	global_load_dwordx2 v[8:9], v2, s[10:11] offset:40
	global_load_dwordx2 v[12:13], v2, s[10:11]
	v_pk_mov_b32 v[10:11], v[4:5], v[4:5] op_sel:[0,1]
	s_waitcnt vmcnt(1)
	v_and_b32_e32 v4, v8, v10
	s_waitcnt vmcnt(0)
	v_mad_u64_u32 v[4:5], s[18:19], v4, 24, v[12:13]
	v_and_b32_e32 v3, v9, v11
	v_mov_b32_e32 v8, v5
	v_mad_u64_u32 v[8:9], s[18:19], v3, 24, v[8:9]
	v_mov_b32_e32 v5, v8
	global_load_dwordx2 v[8:9], v[4:5], off glc
	s_waitcnt vmcnt(0)
	global_atomic_cmpswap_x2 v[4:5], v2, v[8:11], s[10:11] offset:24 glc
	s_waitcnt vmcnt(0)
	buffer_invl2
	buffer_wbinvl1_vol
	v_cmp_eq_u64_e32 vcc, v[4:5], v[10:11]
	s_or_b64 s[16:17], vcc, s[16:17]
	s_andn2_b64 exec, exec, s[16:17]
	s_cbranch_execnz .LBB1_372
; %bb.373:
	s_or_b64 exec, exec, s[16:17]
.LBB1_374:
	s_or_b64 exec, exec, s[14:15]
.LBB1_375:
	s_or_b64 exec, exec, s[12:13]
	s_waitcnt vmcnt(0)
	v_mov_b32_e32 v2, 0
	global_load_dwordx2 v[12:13], v2, s[10:11] offset:40
	global_load_dwordx4 v[8:11], v2, s[10:11]
	v_readfirstlane_b32 s12, v4
	v_readfirstlane_b32 s13, v5
	s_mov_b64 s[14:15], exec
	s_waitcnt vmcnt(1)
	v_readfirstlane_b32 s16, v12
	v_readfirstlane_b32 s17, v13
	s_and_b64 s[16:17], s[12:13], s[16:17]
	s_mul_i32 s18, s17, 24
	s_mul_hi_u32 s19, s16, 24
	s_mul_i32 s20, s16, 24
	s_add_i32 s18, s19, s18
	v_mov_b32_e32 v3, s18
	s_waitcnt vmcnt(0)
	v_add_co_u32_e32 v4, vcc, s20, v8
	v_addc_co_u32_e32 v5, vcc, v9, v3, vcc
	s_and_saveexec_b64 s[18:19], s[4:5]
	s_cbranch_execz .LBB1_377
; %bb.376:
	v_pk_mov_b32 v[12:13], s[14:15], s[14:15] op_sel:[0,1]
	v_mov_b32_e32 v14, 2
	v_mov_b32_e32 v15, 1
	global_store_dwordx4 v[4:5], v[12:15], off offset:8
.LBB1_377:
	s_or_b64 exec, exec, s[18:19]
	s_lshl_b64 s[14:15], s[16:17], 12
	v_mov_b32_e32 v3, s15
	v_add_co_u32_e32 v12, vcc, s14, v10
	v_addc_co_u32_e32 v13, vcc, v11, v3, vcc
	s_movk_i32 s14, 0xff1f
	s_mov_b32 s16, 0
	v_and_or_b32 v0, v0, s14, 32
	v_mov_b32_e32 v3, v2
	v_readfirstlane_b32 s14, v12
	v_readfirstlane_b32 s15, v13
	s_mov_b32 s17, s16
	v_add_co_u32_e32 v10, vcc, v12, v52
	s_mov_b32 s18, s16
	s_mov_b32 s19, s16
	s_nop 0
	global_store_dwordx4 v52, v[0:3], s[14:15]
	v_addc_co_u32_e32 v11, vcc, 0, v13, vcc
	v_pk_mov_b32 v[0:1], s[16:17], s[16:17] op_sel:[0,1]
	v_pk_mov_b32 v[2:3], s[18:19], s[18:19] op_sel:[0,1]
	global_store_dwordx4 v52, v[0:3], s[14:15] offset:16
	global_store_dwordx4 v52, v[0:3], s[14:15] offset:32
	;; [unrolled: 1-line block ×3, first 2 shown]
	s_and_saveexec_b64 s[14:15], s[4:5]
	s_cbranch_execz .LBB1_385
; %bb.378:
	v_mov_b32_e32 v12, 0
	global_load_dwordx2 v[16:17], v12, s[10:11] offset:32 glc
	global_load_dwordx2 v[0:1], v12, s[10:11] offset:40
	v_mov_b32_e32 v14, s12
	v_mov_b32_e32 v15, s13
	s_waitcnt vmcnt(0)
	v_readfirstlane_b32 s16, v0
	v_readfirstlane_b32 s17, v1
	s_and_b64 s[16:17], s[16:17], s[12:13]
	s_mul_i32 s17, s17, 24
	s_mul_hi_u32 s18, s16, 24
	s_mul_i32 s16, s16, 24
	s_add_i32 s17, s18, s17
	v_mov_b32_e32 v0, s17
	v_add_co_u32_e32 v8, vcc, s16, v8
	v_addc_co_u32_e32 v9, vcc, v9, v0, vcc
	global_store_dwordx2 v[8:9], v[16:17], off
	buffer_wbl2
	s_waitcnt vmcnt(0)
	global_atomic_cmpswap_x2 v[2:3], v12, v[14:17], s[10:11] offset:32 glc
	s_waitcnt vmcnt(0)
	v_cmp_ne_u64_e32 vcc, v[2:3], v[16:17]
	s_and_saveexec_b64 s[16:17], vcc
	s_cbranch_execz .LBB1_381
; %bb.379:
	s_mov_b64 s[18:19], 0
.LBB1_380:                              ; =>This Inner Loop Header: Depth=1
	s_sleep 1
	global_store_dwordx2 v[8:9], v[2:3], off
	v_mov_b32_e32 v0, s12
	v_mov_b32_e32 v1, s13
	buffer_wbl2
	s_waitcnt vmcnt(0)
	global_atomic_cmpswap_x2 v[0:1], v12, v[0:3], s[10:11] offset:32 glc
	s_waitcnt vmcnt(0)
	v_cmp_eq_u64_e32 vcc, v[0:1], v[2:3]
	s_or_b64 s[18:19], vcc, s[18:19]
	v_pk_mov_b32 v[2:3], v[0:1], v[0:1] op_sel:[0,1]
	s_andn2_b64 exec, exec, s[18:19]
	s_cbranch_execnz .LBB1_380
.LBB1_381:
	s_or_b64 exec, exec, s[16:17]
	v_mov_b32_e32 v3, 0
	global_load_dwordx2 v[0:1], v3, s[10:11] offset:16
	s_mov_b64 s[16:17], exec
	v_mbcnt_lo_u32_b32 v2, s16, 0
	v_mbcnt_hi_u32_b32 v2, s17, v2
	v_cmp_eq_u32_e32 vcc, 0, v2
	s_and_saveexec_b64 s[18:19], vcc
	s_cbranch_execz .LBB1_383
; %bb.382:
	s_bcnt1_i32_b64 s16, s[16:17]
	v_mov_b32_e32 v2, s16
	buffer_wbl2
	s_waitcnt vmcnt(0)
	global_atomic_add_x2 v[0:1], v[2:3], off offset:8
.LBB1_383:
	s_or_b64 exec, exec, s[18:19]
	s_waitcnt vmcnt(0)
	global_load_dwordx2 v[2:3], v[0:1], off offset:16
	s_waitcnt vmcnt(0)
	v_cmp_eq_u64_e32 vcc, 0, v[2:3]
	s_cbranch_vccnz .LBB1_385
; %bb.384:
	global_load_dword v0, v[0:1], off offset:24
	v_mov_b32_e32 v1, 0
	buffer_wbl2
	s_waitcnt vmcnt(0)
	global_store_dwordx2 v[2:3], v[0:1], off
	v_and_b32_e32 v0, 0xffffff, v0
	v_readfirstlane_b32 m0, v0
	s_sendmsg sendmsg(MSG_INTERRUPT)
.LBB1_385:
	s_or_b64 exec, exec, s[14:15]
	s_branch .LBB1_389
.LBB1_386:                              ;   in Loop: Header=BB1_389 Depth=1
	s_or_b64 exec, exec, s[14:15]
	v_readfirstlane_b32 s14, v0
	s_cmp_eq_u32 s14, 0
	s_cbranch_scc1 .LBB1_388
; %bb.387:                              ;   in Loop: Header=BB1_389 Depth=1
	s_sleep 1
	s_cbranch_execnz .LBB1_389
	s_branch .LBB1_391
.LBB1_388:
	s_branch .LBB1_391
.LBB1_389:                              ; =>This Inner Loop Header: Depth=1
	v_mov_b32_e32 v0, 1
	s_and_saveexec_b64 s[14:15], s[4:5]
	s_cbranch_execz .LBB1_386
; %bb.390:                              ;   in Loop: Header=BB1_389 Depth=1
	global_load_dword v0, v[4:5], off offset:20 glc
	s_waitcnt vmcnt(0)
	buffer_invl2
	buffer_wbinvl1_vol
	v_and_b32_e32 v0, 1, v0
	s_branch .LBB1_386
.LBB1_391:
	global_load_dwordx2 v[0:1], v[10:11], off
	s_and_saveexec_b64 s[14:15], s[4:5]
	s_cbranch_execz .LBB1_394
; %bb.392:
	v_mov_b32_e32 v10, 0
	global_load_dwordx2 v[8:9], v10, s[10:11] offset:40
	global_load_dwordx2 v[12:13], v10, s[10:11] offset:24 glc
	global_load_dwordx2 v[14:15], v10, s[10:11]
	v_mov_b32_e32 v3, s13
	s_mov_b64 s[4:5], 0
	s_waitcnt vmcnt(2)
	v_add_co_u32_e32 v5, vcc, 1, v8
	v_addc_co_u32_e32 v11, vcc, 0, v9, vcc
	v_add_co_u32_e32 v2, vcc, s12, v5
	v_addc_co_u32_e32 v3, vcc, v11, v3, vcc
	v_cmp_eq_u64_e32 vcc, 0, v[2:3]
	v_cndmask_b32_e32 v3, v3, v11, vcc
	v_cndmask_b32_e32 v2, v2, v5, vcc
	v_and_b32_e32 v5, v3, v9
	v_and_b32_e32 v8, v2, v8
	v_mul_lo_u32 v5, v5, 24
	v_mul_hi_u32 v9, v8, 24
	v_mul_lo_u32 v8, v8, 24
	v_add_u32_e32 v5, v9, v5
	s_waitcnt vmcnt(0)
	v_add_co_u32_e32 v8, vcc, v14, v8
	v_addc_co_u32_e32 v9, vcc, v15, v5, vcc
	v_mov_b32_e32 v4, v12
	global_store_dwordx2 v[8:9], v[12:13], off
	v_mov_b32_e32 v5, v13
	buffer_wbl2
	s_waitcnt vmcnt(0)
	global_atomic_cmpswap_x2 v[4:5], v10, v[2:5], s[10:11] offset:24 glc
	s_waitcnt vmcnt(0)
	v_cmp_ne_u64_e32 vcc, v[4:5], v[12:13]
	s_and_b64 exec, exec, vcc
	s_cbranch_execz .LBB1_394
.LBB1_393:                              ; =>This Inner Loop Header: Depth=1
	s_sleep 1
	global_store_dwordx2 v[8:9], v[4:5], off
	buffer_wbl2
	s_waitcnt vmcnt(0)
	global_atomic_cmpswap_x2 v[12:13], v10, v[2:5], s[10:11] offset:24 glc
	s_waitcnt vmcnt(0)
	v_cmp_eq_u64_e32 vcc, v[12:13], v[4:5]
	s_or_b64 s[4:5], vcc, s[4:5]
	v_pk_mov_b32 v[4:5], v[12:13], v[12:13] op_sel:[0,1]
	s_andn2_b64 exec, exec, s[4:5]
	s_cbranch_execnz .LBB1_393
.LBB1_394:
	s_or_b64 exec, exec, s[14:15]
.LBB1_395:
	s_or_b64 exec, exec, s[6:7]
	s_mov_b64 s[4:5], 0
	s_waitcnt vmcnt(0)
	v_pk_mov_b32 v[2:3], v[6:7], v[6:7] op_sel:[0,1]
.LBB1_396:                              ; =>This Inner Loop Header: Depth=1
	flat_load_ubyte v8, v[2:3]
	v_add_co_u32_e32 v4, vcc, 1, v2
	v_addc_co_u32_e32 v5, vcc, 0, v3, vcc
	v_pk_mov_b32 v[2:3], v[4:5], v[4:5] op_sel:[0,1]
	s_waitcnt vmcnt(0) lgkmcnt(0)
	v_cmp_eq_u16_e32 vcc, 0, v8
	s_or_b64 s[4:5], vcc, s[4:5]
	s_andn2_b64 exec, exec, s[4:5]
	s_cbranch_execnz .LBB1_396
; %bb.397:
	s_or_b64 exec, exec, s[4:5]
	v_sub_u32_e32 v4, v4, v6
	v_ashrrev_i32_e32 v5, 31, v4
	v_mov_b32_e32 v2, v6
	v_mov_b32_e32 v3, v7
	;; [unrolled: 1-line block ×3, first 2 shown]
	s_getpc_b64 s[4:5]
	s_add_u32 s4, s4, __ockl_fprintf_append_string_n@rel32@lo+4
	s_addc_u32 s5, s5, __ockl_fprintf_append_string_n@rel32@hi+12
	s_swappc_b64 s[30:31], s[4:5]
	s_trap 2
.Lfunc_end1:
	.size	__assert_fail, .Lfunc_end1-__assert_fail
                                        ; -- End function
	.section	.AMDGPU.csdata,"",@progbits
; Function info:
; codeLenInByte = 16108
; NumSgprs: 38
; NumVgprs: 54
; NumAgprs: 0
; TotalNumVgprs: 54
; ScratchSize: 64
; MemoryBound: 0
	.text
	.p2align	2                               ; -- Begin function _ZN3sop14minatoIsop5RecEjjiPNS_3SopEP7VecsMemIjLi8192EE
	.type	_ZN3sop14minatoIsop5RecEjjiPNS_3SopEP7VecsMemIjLi8192EE,@function
_ZN3sop14minatoIsop5RecEjjiPNS_3SopEP7VecsMemIjLi8192EE: ; @_ZN3sop14minatoIsop5RecEjjiPNS_3SopEP7VecsMemIjLi8192EE
; %bb.0:
	s_waitcnt vmcnt(0) expcnt(0) lgkmcnt(0)
	s_mov_b32 s4, s33
	s_mov_b32 s33, s32
	s_or_saveexec_b64 s[6:7], -1
	buffer_store_dword v60, off, s[0:3], s33 offset:104 ; 4-byte Folded Spill
	s_mov_b64 exec, s[6:7]
	v_writelane_b32 v60, s4, 54
	s_addk_i32 s32, 0x1c00
	buffer_store_dword v40, off, s[0:3], s33 offset:44 ; 4-byte Folded Spill
	buffer_store_dword v41, off, s[0:3], s33 offset:40 ; 4-byte Folded Spill
	;; [unrolled: 1-line block ×11, first 2 shown]
	buffer_store_dword v59, off, s[0:3], s33 ; 4-byte Folded Spill
	v_writelane_b32 v60, s34, 0
	v_writelane_b32 v60, s35, 1
	;; [unrolled: 1-line block ×54, first 2 shown]
	v_mov_b32_e32 v54, v0
	v_not_b32_e32 v0, v1
	v_and_b32_e32 v0, v0, v54
	v_mov_b32_e32 v59, v6
	v_mov_b32_e32 v58, v5
	;; [unrolled: 1-line block ×4, first 2 shown]
	s_mov_b64 s[34:35], s[8:9]
	v_cmp_ne_u32_e32 vcc, 0, v0
	s_mov_b64 s[26:27], 0
	s_mov_b64 s[36:37], 0
	s_and_saveexec_b64 s[4:5], vcc
	s_xor_b64 s[28:29], exec, s[4:5]
	s_cbranch_execz .LBB2_2
; %bb.1:
	s_getpc_b64 s[4:5]
	s_add_u32 s4, s4, .str.27@rel32@lo+4
	s_addc_u32 s5, s5, .str.27@rel32@hi+12
	s_getpc_b64 s[6:7]
	s_add_u32 s6, s6, .str.16@rel32@lo+4
	s_addc_u32 s7, s7, .str.16@rel32@hi+12
	s_getpc_b64 s[10:11]
	s_add_u32 s10, s10, __PRETTY_FUNCTION__._ZN3sop14minatoIsop5RecEjjiPNS_3SopEP7VecsMemIjLi8192EE@rel32@lo+4
	s_addc_u32 s11, s11, __PRETTY_FUNCTION__._ZN3sop14minatoIsop5RecEjjiPNS_3SopEP7VecsMemIjLi8192EE@rel32@hi+12
	s_mov_b64 s[8:9], s[34:35]
	v_mov_b32_e32 v0, s4
	v_mov_b32_e32 v1, s5
	;; [unrolled: 1-line block ×7, first 2 shown]
	s_getpc_b64 s[12:13]
	s_add_u32 s12, s12, __assert_fail@rel32@lo+4
	s_addc_u32 s13, s13, __assert_fail@rel32@hi+12
	s_swappc_b64 s[30:31], s[12:13]
	s_mov_b64 s[36:37], exec
                                        ; implicit-def: $vgpr54
                                        ; implicit-def: $vgpr58
                                        ; implicit-def: $vgpr1
                                        ; implicit-def: $vgpr2
.LBB2_2:
	s_or_saveexec_b64 s[38:39], s[28:29]
	s_mov_b64 s[4:5], 0
                                        ; implicit-def: $vgpr0
	s_xor_b64 exec, exec, s[38:39]
	s_cbranch_execz .LBB2_7
; %bb.3:
	v_cmp_ne_u32_e32 vcc, 0, v54
	s_mov_b64 s[6:7], -1
	s_mov_b64 s[8:9], s[36:37]
                                        ; implicit-def: $vgpr0
	s_and_saveexec_b64 s[40:41], vcc
	s_cbranch_execz .LBB2_390
; %bb.4:
	v_cmp_ne_u32_e32 vcc, -1, v1
	s_mov_b64 s[26:27], 0
	s_mov_b64 s[28:29], s[36:37]
                                        ; implicit-def: $vgpr0
	s_and_saveexec_b64 s[4:5], vcc
	s_xor_b64 s[42:43], exec, s[4:5]
	s_cbranch_execz .LBB2_122
; %bb.5:
	v_cmp_lt_i32_e32 vcc, 0, v2
	s_mov_b64 s[4:5], -1
	s_mov_b64 s[28:29], 0
	s_mov_b64 s[44:45], 0
                                        ; implicit-def: $vgpr55
                                        ; implicit-def: $vgpr42
                                        ; implicit-def: $vgpr41
                                        ; implicit-def: $vgpr43
                                        ; implicit-def: $vgpr44
                                        ; implicit-def: $vgpr45
	s_and_saveexec_b64 s[26:27], vcc
	s_cbranch_execz .LBB2_48
; %bb.6:
	v_lshrrev_b32_e32 v0, 8, v54
	v_xor_b32_e32 v0, v0, v54
	v_and_b32_e32 v0, 0xff00ff, v0
	v_cmp_eq_u32_e64 s[4:5], 0, v0
	v_lshrrev_b32_e32 v0, 4, v54
	v_xor_b32_e32 v0, v0, v54
	v_and_b32_e32 v0, 0xf0f0f0f, v0
	v_cmp_eq_u32_e64 s[6:7], 0, v0
	v_lshrrev_b32_e32 v0, 2, v54
	v_xor_b32_e32 v0, v0, v54
	v_and_b32_e32 v0, 0x33333333, v0
	v_cmp_eq_u32_e64 s[8:9], 0, v0
	v_lshrrev_b32_e32 v0, 1, v54
	v_xor_b32_e32 v0, v0, v54
	v_and_b32_e32 v0, 0x55555555, v0
	v_cmp_eq_u32_e64 s[10:11], 0, v0
	v_lshrrev_b32_e32 v0, 8, v1
	v_xor_b32_e32 v0, v0, v1
	v_and_b32_e32 v0, 0xff00ff, v0
	v_cmp_eq_u32_e64 s[14:15], 0, v0
	v_lshrrev_b32_e32 v0, 4, v1
	v_xor_b32_e32 v0, v0, v1
	v_and_b32_e32 v0, 0xf0f0f0f, v0
	v_cmp_eq_u32_e64 s[16:17], 0, v0
	v_lshrrev_b32_e32 v0, 2, v1
	v_xor_b32_e32 v0, v0, v1
	v_and_b32_e32 v0, 0x33333333, v0
	v_cmp_eq_u32_e64 s[18:19], 0, v0
	v_lshrrev_b32_e32 v0, 1, v1
	v_xor_b32_e32 v0, v0, v1
	v_and_b32_e32 v45, 0xffff, v54
	v_lshrrev_b32_e32 v44, 16, v54
	v_and_b32_e32 v43, 0xffff, v1
	v_lshrrev_b32_e32 v41, 16, v1
	v_and_b32_e32 v0, 0x55555555, v0
	v_cmp_eq_u32_e32 vcc, v45, v44
	v_cmp_eq_u32_e64 s[12:13], v43, v41
	v_cmp_eq_u32_e64 s[20:21], 0, v0
	v_cmp_gt_u32_e64 s[22:23], 6, v2
                                        ; implicit-def: $sgpr30_sgpr31
                                        ; implicit-def: $sgpr28_sgpr29
                                        ; implicit-def: $sgpr46_sgpr47
                                        ; implicit-def: $sgpr48_sgpr49
                                        ; implicit-def: $sgpr50_sgpr51
	s_branch .LBB2_12
.LBB2_7:
	s_or_b64 exec, exec, s[38:39]
	s_and_saveexec_b64 s[6:7], s[36:37]
	s_xor_b64 s[6:7], exec, s[6:7]
	s_cbranch_execz .LBB2_391
.LBB2_8:
	; divergent unreachable
                                        ; implicit-def: $vgpr0
	s_or_b64 exec, exec, s[6:7]
	s_and_saveexec_b64 s[6:7], s[26:27]
	s_cbranch_execnz .LBB2_392
	s_branch .LBB2_393
.LBB2_9:                                ;   in Loop: Header=BB2_12 Depth=1
	s_or_b64 exec, exec, s[66:67]
	s_andn2_b64 s[56:57], s[56:57], exec
	s_and_b64 s[62:63], s[62:63], exec
	s_andn2_b64 s[54:55], s[54:55], exec
	s_and_b64 s[60:61], s[60:61], exec
	s_or_b64 s[56:57], s[56:57], s[62:63]
	s_or_b64 s[54:55], s[54:55], s[60:61]
	s_orn2_b64 s[24:25], s[24:25], exec
	v_mov_b32_e32 v2, v0
.LBB2_10:                               ;   in Loop: Header=BB2_12 Depth=1
	s_or_b64 exec, exec, s[58:59]
	s_andn2_b64 s[50:51], s[50:51], exec
	s_and_b64 s[56:57], s[56:57], exec
	s_andn2_b64 s[48:49], s[48:49], exec
	s_and_b64 s[54:55], s[54:55], exec
	;; [unrolled: 2-line block ×3, first 2 shown]
	s_or_b64 s[50:51], s[50:51], s[56:57]
	s_or_b64 s[48:49], s[48:49], s[54:55]
	;; [unrolled: 1-line block ×3, first 2 shown]
.LBB2_11:                               ;   in Loop: Header=BB2_12 Depth=1
	s_or_b64 exec, exec, s[52:53]
	s_xor_b64 s[24:25], s[50:51], -1
	s_xor_b64 s[52:53], s[48:49], -1
	s_and_b64 s[54:55], exec, s[46:47]
	s_or_b64 s[44:45], s[54:55], s[44:45]
	s_andn2_b64 s[28:29], s[28:29], exec
	s_and_b64 s[24:25], s[24:25], exec
	s_or_b64 s[28:29], s[28:29], s[24:25]
	s_andn2_b64 s[24:25], s[30:31], exec
	s_and_b64 s[30:31], s[52:53], exec
	s_or_b64 s[30:31], s[24:25], s[30:31]
	s_andn2_b64 exec, exec, s[44:45]
	s_cbranch_execz .LBB2_235
.LBB2_12:                               ; =>This Inner Loop Header: Depth=1
	s_andn2_b64 s[50:51], s[50:51], exec
	s_or_b64 s[48:49], s[48:49], exec
	s_or_b64 s[46:47], s[46:47], exec
                                        ; implicit-def: $vgpr42
                                        ; implicit-def: $vgpr55
	s_and_saveexec_b64 s[52:53], s[22:23]
	s_cbranch_execz .LBB2_11
; %bb.13:                               ;   in Loop: Header=BB2_12 Depth=1
	v_add_u32_e32 v0, -1, v2
	v_cmp_lt_i32_e64 s[24:25], 3, v2
	s_mov_b64 s[54:55], -1
	s_mov_b64 s[60:61], 0
	s_mov_b64 s[56:57], 0
                                        ; implicit-def: $vgpr42
                                        ; implicit-def: $vgpr55
	s_and_saveexec_b64 s[58:59], s[24:25]
	s_xor_b64 s[58:59], exec, s[58:59]
	s_cbranch_execz .LBB2_20
; %bb.14:                               ;   in Loop: Header=BB2_12 Depth=1
	v_cmp_lt_i32_e64 s[24:25], 4, v2
                                        ; implicit-def: $sgpr63
                                        ; implicit-def: $sgpr62
	s_and_saveexec_b64 s[64:65], s[24:25]
	s_xor_b64 s[24:25], exec, s[64:65]
; %bb.15:                               ;   in Loop: Header=BB2_12 Depth=1
	s_mov_b64 s[56:57], exec
	s_mov_b32 s62, 5
	s_mov_b32 s63, 4
	s_and_b64 s[60:61], vcc, exec
	s_xor_b64 s[54:55], exec, -1
; %bb.16:                               ;   in Loop: Header=BB2_12 Depth=1
	s_or_saveexec_b64 s[24:25], s[24:25]
	v_mov_b32_e32 v42, s63
	v_mov_b32_e32 v55, s62
	s_xor_b64 exec, exec, s[24:25]
; %bb.17:                               ;   in Loop: Header=BB2_12 Depth=1
	s_andn2_b64 s[60:61], s[60:61], exec
	s_and_b64 s[62:63], s[4:5], exec
	v_mov_b32_e32 v55, 4
	s_or_b64 s[56:57], s[56:57], exec
	s_andn2_b64 s[54:55], s[54:55], exec
	s_or_b64 s[60:61], s[60:61], s[62:63]
	v_mov_b32_e32 v42, v0
; %bb.18:                               ;   in Loop: Header=BB2_12 Depth=1
	s_or_b64 exec, exec, s[24:25]
	s_and_b64 s[56:57], s[56:57], exec
	s_orn2_b64 s[54:55], s[54:55], exec
	s_and_b64 s[60:61], s[60:61], exec
	s_andn2_saveexec_b64 s[58:59], s[58:59]
	s_cbranch_execnz .LBB2_21
.LBB2_19:                               ;   in Loop: Header=BB2_12 Depth=1
	s_or_b64 exec, exec, s[58:59]
	s_mov_b64 s[24:25], -1
	s_and_saveexec_b64 s[58:59], s[60:61]
	s_cbranch_execz .LBB2_10
	s_branch .LBB2_30
.LBB2_20:                               ;   in Loop: Header=BB2_12 Depth=1
	s_andn2_saveexec_b64 s[58:59], s[58:59]
	s_cbranch_execz .LBB2_19
.LBB2_21:                               ;   in Loop: Header=BB2_12 Depth=1
	v_cmp_lt_i32_e64 s[24:25], 2, v2
	s_mov_b64 s[64:65], s[60:61]
	s_mov_b64 s[62:63], s[54:55]
	;; [unrolled: 1-line block ×3, first 2 shown]
	s_and_saveexec_b64 s[68:69], s[24:25]
	s_xor_b64 s[24:25], exec, s[68:69]
; %bb.22:                               ;   in Loop: Header=BB2_12 Depth=1
	s_andn2_b64 s[64:65], s[60:61], exec
	s_and_b64 s[68:69], s[6:7], exec
	v_mov_b32_e32 v55, 3
	s_or_b64 s[66:67], s[56:57], exec
	s_andn2_b64 s[62:63], s[54:55], exec
	s_or_b64 s[64:65], s[64:65], s[68:69]
	v_mov_b32_e32 v42, v0
; %bb.23:                               ;   in Loop: Header=BB2_12 Depth=1
	s_andn2_saveexec_b64 s[68:69], s[24:25]
	s_cbranch_execz .LBB2_29
; %bb.24:                               ;   in Loop: Header=BB2_12 Depth=1
	v_cmp_ne_u32_e64 s[24:25], 2, v2
	s_mov_b64 s[72:73], s[64:65]
	s_mov_b64 s[70:71], s[62:63]
	;; [unrolled: 1-line block ×3, first 2 shown]
	s_and_saveexec_b64 s[76:77], s[24:25]
	s_xor_b64 s[24:25], exec, s[76:77]
; %bb.25:                               ;   in Loop: Header=BB2_12 Depth=1
	s_andn2_b64 s[72:73], s[64:65], exec
	s_and_b64 s[76:77], s[10:11], exec
	v_mov_b32_e32 v55, 1
	s_or_b64 s[74:75], s[66:67], exec
	s_andn2_b64 s[70:71], s[62:63], exec
	s_or_b64 s[72:73], s[72:73], s[76:77]
	v_mov_b32_e32 v42, v0
; %bb.26:                               ;   in Loop: Header=BB2_12 Depth=1
	s_andn2_saveexec_b64 s[24:25], s[24:25]
; %bb.27:                               ;   in Loop: Header=BB2_12 Depth=1
	s_andn2_b64 s[72:73], s[72:73], exec
	s_and_b64 s[76:77], s[8:9], exec
	v_mov_b32_e32 v55, 2
	s_or_b64 s[74:75], s[74:75], exec
	s_andn2_b64 s[70:71], s[70:71], exec
	s_or_b64 s[72:73], s[72:73], s[76:77]
	v_mov_b32_e32 v42, v0
; %bb.28:                               ;   in Loop: Header=BB2_12 Depth=1
	s_or_b64 exec, exec, s[24:25]
	s_andn2_b64 s[24:25], s[66:67], exec
	s_and_b64 s[66:67], s[74:75], exec
	s_or_b64 s[66:67], s[24:25], s[66:67]
	s_andn2_b64 s[24:25], s[62:63], exec
	s_and_b64 s[62:63], s[70:71], exec
	s_or_b64 s[62:63], s[24:25], s[62:63]
	s_andn2_b64 s[24:25], s[64:65], exec
	s_and_b64 s[64:65], s[72:73], exec
	s_or_b64 s[64:65], s[24:25], s[64:65]
.LBB2_29:                               ;   in Loop: Header=BB2_12 Depth=1
	s_or_b64 exec, exec, s[68:69]
	s_andn2_b64 s[24:25], s[56:57], exec
	s_and_b64 s[56:57], s[66:67], exec
	s_or_b64 s[56:57], s[24:25], s[56:57]
	s_andn2_b64 s[24:25], s[54:55], exec
	s_and_b64 s[54:55], s[62:63], exec
	s_or_b64 s[54:55], s[24:25], s[54:55]
	;; [unrolled: 3-line block ×3, first 2 shown]
	s_or_b64 exec, exec, s[58:59]
	s_mov_b64 s[24:25], -1
	s_and_saveexec_b64 s[58:59], s[60:61]
	s_cbranch_execz .LBB2_10
.LBB2_30:                               ;   in Loop: Header=BB2_12 Depth=1
	v_cmp_lt_i32_e64 s[24:25], 3, v2
	s_mov_b64 s[64:65], 0
	s_mov_b64 s[60:61], s[54:55]
	;; [unrolled: 1-line block ×3, first 2 shown]
	s_and_saveexec_b64 s[66:67], s[24:25]
	s_xor_b64 s[66:67], exec, s[66:67]
	s_cbranch_execz .LBB2_37
; %bb.31:                               ;   in Loop: Header=BB2_12 Depth=1
	v_cmp_lt_i32_e64 s[24:25], 4, v2
	s_mov_b64 s[60:61], s[54:55]
	s_mov_b64 s[62:63], s[56:57]
	s_and_saveexec_b64 s[68:69], s[24:25]
	s_xor_b64 s[24:25], exec, s[68:69]
; %bb.32:                               ;   in Loop: Header=BB2_12 Depth=1
	v_mov_b32_e32 v55, 5
	s_or_b64 s[62:63], s[56:57], exec
	s_andn2_b64 s[60:61], s[54:55], exec
	s_and_b64 s[64:65], s[12:13], exec
	v_mov_b32_e32 v42, v0
; %bb.33:                               ;   in Loop: Header=BB2_12 Depth=1
	s_andn2_saveexec_b64 s[24:25], s[24:25]
; %bb.34:                               ;   in Loop: Header=BB2_12 Depth=1
	s_andn2_b64 s[64:65], s[64:65], exec
	s_and_b64 s[68:69], s[14:15], exec
	v_mov_b32_e32 v55, 4
	s_or_b64 s[62:63], s[62:63], exec
	s_andn2_b64 s[60:61], s[60:61], exec
	s_or_b64 s[64:65], s[64:65], s[68:69]
	v_mov_b32_e32 v42, v0
; %bb.35:                               ;   in Loop: Header=BB2_12 Depth=1
	s_or_b64 exec, exec, s[24:25]
	s_andn2_b64 s[24:25], s[56:57], exec
	s_and_b64 s[62:63], s[62:63], exec
	s_or_b64 s[62:63], s[24:25], s[62:63]
	s_andn2_b64 s[24:25], s[54:55], exec
	s_and_b64 s[60:61], s[60:61], exec
	s_or_b64 s[60:61], s[24:25], s[60:61]
	s_and_b64 s[64:65], s[64:65], exec
	s_andn2_saveexec_b64 s[66:67], s[66:67]
	s_cbranch_execnz .LBB2_38
.LBB2_36:                               ;   in Loop: Header=BB2_12 Depth=1
	s_or_b64 exec, exec, s[66:67]
	s_mov_b64 s[24:25], -1
	s_and_saveexec_b64 s[66:67], s[64:65]
	s_cbranch_execz .LBB2_9
	s_branch .LBB2_47
.LBB2_37:                               ;   in Loop: Header=BB2_12 Depth=1
	s_andn2_saveexec_b64 s[66:67], s[66:67]
	s_cbranch_execz .LBB2_36
.LBB2_38:                               ;   in Loop: Header=BB2_12 Depth=1
	v_cmp_lt_i32_e64 s[24:25], 2, v2
	s_mov_b64 s[70:71], s[64:65]
	s_mov_b64 s[68:69], s[60:61]
	;; [unrolled: 1-line block ×3, first 2 shown]
	s_and_saveexec_b64 s[74:75], s[24:25]
	s_xor_b64 s[24:25], exec, s[74:75]
; %bb.39:                               ;   in Loop: Header=BB2_12 Depth=1
	s_andn2_b64 s[70:71], s[64:65], exec
	s_and_b64 s[74:75], s[16:17], exec
	v_mov_b32_e32 v55, 3
	s_or_b64 s[72:73], s[62:63], exec
	s_andn2_b64 s[68:69], s[60:61], exec
	s_or_b64 s[70:71], s[70:71], s[74:75]
	v_mov_b32_e32 v42, v0
; %bb.40:                               ;   in Loop: Header=BB2_12 Depth=1
	s_andn2_saveexec_b64 s[74:75], s[24:25]
	s_cbranch_execz .LBB2_46
; %bb.41:                               ;   in Loop: Header=BB2_12 Depth=1
	v_cmp_ne_u32_e64 s[24:25], 2, v2
	s_mov_b64 s[78:79], s[70:71]
	s_mov_b64 s[76:77], s[68:69]
	;; [unrolled: 1-line block ×3, first 2 shown]
	s_and_saveexec_b64 s[82:83], s[24:25]
	s_xor_b64 s[24:25], exec, s[82:83]
; %bb.42:                               ;   in Loop: Header=BB2_12 Depth=1
	s_andn2_b64 s[78:79], s[70:71], exec
	s_and_b64 s[82:83], s[20:21], exec
	v_mov_b32_e32 v55, 1
	s_or_b64 s[80:81], s[72:73], exec
	s_andn2_b64 s[76:77], s[68:69], exec
	s_or_b64 s[78:79], s[78:79], s[82:83]
	v_mov_b32_e32 v42, v0
; %bb.43:                               ;   in Loop: Header=BB2_12 Depth=1
	s_andn2_saveexec_b64 s[24:25], s[24:25]
; %bb.44:                               ;   in Loop: Header=BB2_12 Depth=1
	s_andn2_b64 s[78:79], s[78:79], exec
	s_and_b64 s[82:83], s[18:19], exec
	v_mov_b32_e32 v55, 2
	s_or_b64 s[80:81], s[80:81], exec
	s_andn2_b64 s[76:77], s[76:77], exec
	s_or_b64 s[78:79], s[78:79], s[82:83]
	v_mov_b32_e32 v42, v0
; %bb.45:                               ;   in Loop: Header=BB2_12 Depth=1
	s_or_b64 exec, exec, s[24:25]
	s_andn2_b64 s[24:25], s[72:73], exec
	s_and_b64 s[72:73], s[80:81], exec
	s_or_b64 s[72:73], s[24:25], s[72:73]
	s_andn2_b64 s[24:25], s[68:69], exec
	s_and_b64 s[68:69], s[76:77], exec
	s_or_b64 s[68:69], s[24:25], s[68:69]
	;; [unrolled: 3-line block ×3, first 2 shown]
.LBB2_46:                               ;   in Loop: Header=BB2_12 Depth=1
	s_or_b64 exec, exec, s[74:75]
	s_andn2_b64 s[24:25], s[62:63], exec
	s_and_b64 s[62:63], s[72:73], exec
	s_or_b64 s[62:63], s[24:25], s[62:63]
	s_andn2_b64 s[24:25], s[60:61], exec
	s_and_b64 s[60:61], s[68:69], exec
	s_or_b64 s[60:61], s[24:25], s[60:61]
	;; [unrolled: 3-line block ×3, first 2 shown]
	s_or_b64 exec, exec, s[66:67]
	s_mov_b64 s[24:25], -1
	s_and_saveexec_b64 s[66:67], s[64:65]
	s_cbranch_execz .LBB2_9
.LBB2_47:                               ;   in Loop: Header=BB2_12 Depth=1
	v_cmp_gt_i32_e64 s[24:25], 2, v2
	s_andn2_b64 s[62:63], s[62:63], exec
	s_andn2_b64 s[60:61], s[60:61], exec
	s_orn2_b64 s[24:25], s[24:25], exec
                                        ; implicit-def: $vgpr42
                                        ; implicit-def: $vgpr55
	s_branch .LBB2_9
.LBB2_48:
	s_or_b64 exec, exec, s[26:27]
	s_mov_b64 s[46:47], s[36:37]
	s_and_saveexec_b64 s[26:27], s[4:5]
	s_cbranch_execz .LBB2_50
.LBB2_49:
	s_getpc_b64 s[4:5]
	s_add_u32 s4, s4, .str.21@rel32@lo+4
	s_addc_u32 s5, s5, .str.21@rel32@hi+12
	s_getpc_b64 s[6:7]
	s_add_u32 s6, s6, .str.16@rel32@lo+4
	s_addc_u32 s7, s7, .str.16@rel32@hi+12
	s_getpc_b64 s[10:11]
	s_add_u32 s10, s10, __PRETTY_FUNCTION__._ZN3sop14minatoIsop5RecEjjiPNS_3SopEP7VecsMemIjLi8192EE@rel32@lo+4
	s_addc_u32 s11, s11, __PRETTY_FUNCTION__._ZN3sop14minatoIsop5RecEjjiPNS_3SopEP7VecsMemIjLi8192EE@rel32@hi+12
	s_mov_b64 s[8:9], s[34:35]
	v_mov_b32_e32 v0, s4
	v_accvgpr_write_b32 a0, v1
	v_mov_b32_e32 v1, s5
	v_mov_b32_e32 v2, s6
	v_mov_b32_e32 v3, s7
	v_mov_b32_e32 v4, 41
	v_mov_b32_e32 v5, s10
	v_mov_b32_e32 v6, s11
	s_getpc_b64 s[12:13]
	s_add_u32 s12, s12, __assert_fail@rel32@lo+4
	s_addc_u32 s13, s13, __assert_fail@rel32@hi+12
	s_swappc_b64 s[30:31], s[12:13]
	v_accvgpr_read_b32 v1, a0
	s_or_b64 s[46:47], s[36:37], exec
	s_andn2_b64 s[28:29], s[28:29], exec
.LBB2_50:
	s_or_b64 exec, exec, s[26:27]
	s_mov_b64 s[26:27], 0
                                        ; implicit-def: $vgpr0
	s_and_saveexec_b64 s[48:49], s[28:29]
	s_cbranch_execz .LBB2_119
; %bb.51:
	v_cmp_lt_i32_e32 vcc, 3, v55
                                        ; implicit-def: $vgpr56
	s_and_saveexec_b64 s[4:5], vcc
	s_xor_b64 s[4:5], exec, s[4:5]
	s_cbranch_execz .LBB2_57
; %bb.52:
	v_cmp_lt_i32_e32 vcc, 4, v55
                                        ; implicit-def: $vgpr56
	s_and_saveexec_b64 s[6:7], vcc
	s_xor_b64 s[6:7], exec, s[6:7]
; %bb.53:
	v_mul_u32_u24_e32 v56, 0x10001, v45
; %bb.54:
	s_andn2_saveexec_b64 s[6:7], s[6:7]
; %bb.55:
	v_and_b32_e32 v0, 0xff00ff, v54
	v_mul_u32_u24_e32 v56, 0x101, v0
; %bb.56:
	s_or_b64 exec, exec, s[6:7]
.LBB2_57:
	s_andn2_saveexec_b64 s[4:5], s[4:5]
	s_cbranch_execz .LBB2_67
; %bb.58:
	v_cmp_lt_i32_e32 vcc, 2, v55
                                        ; implicit-def: $vgpr56
	s_and_saveexec_b64 s[6:7], vcc
	s_xor_b64 s[6:7], exec, s[6:7]
; %bb.59:
	v_and_b32_e32 v0, 0xf0f0f0f, v54
	v_lshl_add_u32 v56, v0, 4, v0
; %bb.60:
	s_andn2_saveexec_b64 s[6:7], s[6:7]
	s_cbranch_execz .LBB2_66
; %bb.61:
	v_cmp_ne_u32_e32 vcc, 2, v55
                                        ; implicit-def: $vgpr56
	s_and_saveexec_b64 s[8:9], vcc
	s_xor_b64 s[8:9], exec, s[8:9]
; %bb.62:
	v_and_b32_e32 v0, 0x55555555, v54
	v_lshl_add_u32 v56, v0, 1, v0
; %bb.63:
	s_andn2_saveexec_b64 s[8:9], s[8:9]
; %bb.64:
	v_and_b32_e32 v0, 0x33333333, v54
	v_lshl_add_u32 v56, v0, 2, v0
; %bb.65:
	s_or_b64 exec, exec, s[8:9]
.LBB2_66:
	s_or_b64 exec, exec, s[6:7]
.LBB2_67:
	s_or_b64 exec, exec, s[4:5]
	v_cmp_lt_i32_e32 vcc, 3, v55
                                        ; implicit-def: $vgpr45
	s_and_saveexec_b64 s[4:5], vcc
	s_xor_b64 s[4:5], exec, s[4:5]
	s_cbranch_execz .LBB2_73
; %bb.68:
	v_cmp_lt_i32_e32 vcc, 4, v55
                                        ; implicit-def: $vgpr45
	s_and_saveexec_b64 s[6:7], vcc
	s_xor_b64 s[6:7], exec, s[6:7]
	s_cbranch_execz .LBB2_70
; %bb.69:
	v_mul_u32_u24_e32 v45, 0x10001, v44
	buffer_store_dword v45, off, s[0:3], s33 offset:96
                                        ; implicit-def: $vgpr54
.LBB2_70:
	s_andn2_saveexec_b64 s[6:7], s[6:7]
	s_cbranch_execz .LBB2_72
; %bb.71:
	v_and_b32_e32 v0, 0xff00ff00, v54
	v_lshrrev_b32_e32 v2, 8, v0
	v_or_b32_e32 v45, v2, v0
	buffer_store_dword v45, off, s[0:3], s33 offset:96
.LBB2_72:
	s_or_b64 exec, exec, s[6:7]
                                        ; implicit-def: $vgpr54
.LBB2_73:
	s_andn2_saveexec_b64 s[4:5], s[4:5]
	s_cbranch_execz .LBB2_83
; %bb.74:
	v_cmp_lt_i32_e32 vcc, 2, v55
                                        ; implicit-def: $vgpr45
	s_and_saveexec_b64 s[6:7], vcc
	s_xor_b64 s[6:7], exec, s[6:7]
	s_cbranch_execz .LBB2_76
; %bb.75:
	v_and_b32_e32 v0, 0xf0f0f0f0, v54
	v_lshrrev_b32_e32 v2, 4, v0
	v_or_b32_e32 v45, v2, v0
	buffer_store_dword v45, off, s[0:3], s33 offset:96
                                        ; implicit-def: $vgpr54
.LBB2_76:
	s_andn2_saveexec_b64 s[6:7], s[6:7]
	s_cbranch_execz .LBB2_82
; %bb.77:
	v_cmp_ne_u32_e32 vcc, 2, v55
                                        ; implicit-def: $vgpr45
	s_and_saveexec_b64 s[8:9], vcc
	s_xor_b64 s[8:9], exec, s[8:9]
	s_cbranch_execz .LBB2_79
; %bb.78:
	v_and_b32_e32 v0, 0xaaaaaaaa, v54
	v_lshrrev_b32_e32 v2, 1, v0
	v_or_b32_e32 v45, v2, v0
	buffer_store_dword v45, off, s[0:3], s33 offset:96
                                        ; implicit-def: $vgpr54
.LBB2_79:
	s_andn2_saveexec_b64 s[8:9], s[8:9]
	s_cbranch_execz .LBB2_81
; %bb.80:
	v_and_b32_e32 v0, 0xcccccccc, v54
	v_lshrrev_b32_e32 v2, 2, v0
	v_or_b32_e32 v45, v2, v0
	buffer_store_dword v45, off, s[0:3], s33 offset:96
.LBB2_81:
	s_or_b64 exec, exec, s[8:9]
.LBB2_82:
	s_or_b64 exec, exec, s[6:7]
.LBB2_83:
	s_or_b64 exec, exec, s[4:5]
	v_cmp_lt_i32_e32 vcc, 2, v55
                                        ; implicit-def: $vgpr40
	s_and_saveexec_b64 s[4:5], vcc
	s_xor_b64 s[4:5], exec, s[4:5]
	s_cbranch_execz .LBB2_95
; %bb.84:
	v_cmp_lt_i32_e32 vcc, 3, v55
                                        ; implicit-def: $vgpr40
	s_and_saveexec_b64 s[6:7], vcc
	s_xor_b64 s[6:7], exec, s[6:7]
	s_cbranch_execz .LBB2_92
; %bb.85:
	;; [unrolled: 6-line block ×3, first 2 shown]
	v_cmp_eq_u32_e32 vcc, 5, v55
	v_mov_b32_e32 v40, v1
	s_and_saveexec_b64 s[10:11], vcc
; %bb.87:
	v_mul_u32_u24_e32 v40, 0x10001, v43
; %bb.88:
	s_or_b64 exec, exec, s[10:11]
.LBB2_89:
	s_andn2_saveexec_b64 s[8:9], s[8:9]
; %bb.90:
	v_and_b32_e32 v0, 0xff00ff, v1
	v_mul_u32_u24_e32 v40, 0x101, v0
; %bb.91:
	s_or_b64 exec, exec, s[8:9]
.LBB2_92:
	s_andn2_saveexec_b64 s[6:7], s[6:7]
; %bb.93:
	v_and_b32_e32 v0, 0xf0f0f0f, v1
	v_lshl_add_u32 v40, v0, 4, v0
; %bb.94:
	s_or_b64 exec, exec, s[6:7]
.LBB2_95:
	s_andn2_saveexec_b64 s[4:5], s[4:5]
	s_cbranch_execz .LBB2_103
; %bb.96:
	v_cmp_lt_i32_e32 vcc, 1, v55
                                        ; implicit-def: $vgpr40
	s_and_saveexec_b64 s[6:7], vcc
	s_xor_b64 s[6:7], exec, s[6:7]
; %bb.97:
	v_and_b32_e32 v0, 0x33333333, v1
	v_lshl_add_u32 v40, v0, 2, v0
; %bb.98:
	s_andn2_saveexec_b64 s[6:7], s[6:7]
	s_cbranch_execz .LBB2_102
; %bb.99:
	v_cmp_eq_u32_e32 vcc, 1, v55
	v_mov_b32_e32 v40, v1
	s_and_saveexec_b64 s[8:9], vcc
; %bb.100:
	v_and_b32_e32 v0, 0x55555555, v1
	v_lshl_add_u32 v40, v0, 1, v0
; %bb.101:
	s_or_b64 exec, exec, s[8:9]
.LBB2_102:
	s_or_b64 exec, exec, s[6:7]
.LBB2_103:
	s_or_b64 exec, exec, s[4:5]
	v_cmp_lt_i32_e32 vcc, 2, v55
	s_mov_b64 s[4:5], 0
	s_mov_b64 s[8:9], 0
                                        ; implicit-def: $vgpr43
	s_and_saveexec_b64 s[6:7], vcc
	s_xor_b64 s[6:7], exec, s[6:7]
	s_cbranch_execz .LBB2_238
; %bb.104:
	v_cmp_lt_i32_e32 vcc, 3, v55
	s_mov_b64 s[10:11], 0
                                        ; implicit-def: $vgpr43
	s_and_saveexec_b64 s[8:9], vcc
	s_xor_b64 s[8:9], exec, s[8:9]
	s_cbranch_execz .LBB2_112
; %bb.105:
	v_cmp_lt_i32_e32 vcc, 4, v55
                                        ; implicit-def: $vgpr43
	s_and_saveexec_b64 s[12:13], vcc
	s_xor_b64 s[12:13], exec, s[12:13]
	s_cbranch_execz .LBB2_109
; %bb.106:
	v_cmp_eq_u32_e32 vcc, 5, v55
	s_mov_b64 s[10:11], -1
                                        ; implicit-def: $vgpr43
	s_and_saveexec_b64 s[14:15], vcc
	s_cbranch_execz .LBB2_108
; %bb.107:
	v_mul_u32_u24_e32 v43, 0x10001, v41
	s_xor_b64 s[10:11], exec, -1
	buffer_store_dword v43, off, s[0:3], s33 offset:100
.LBB2_108:
	s_or_b64 exec, exec, s[14:15]
	s_and_b64 s[10:11], s[10:11], exec
.LBB2_109:
	s_andn2_saveexec_b64 s[12:13], s[12:13]
	s_cbranch_execz .LBB2_111
; %bb.110:
	v_and_b32_e32 v0, 0xff00ff00, v1
	v_lshrrev_b32_e32 v2, 8, v0
	v_or_b32_e32 v43, v2, v0
	buffer_store_dword v43, off, s[0:3], s33 offset:100
.LBB2_111:
	s_or_b64 exec, exec, s[12:13]
	s_and_b64 s[10:11], s[10:11], exec
.LBB2_112:
	s_andn2_saveexec_b64 s[8:9], s[8:9]
	s_cbranch_execz .LBB2_114
; %bb.113:
	v_and_b32_e32 v0, 0xf0f0f0f0, v1
	v_lshrrev_b32_e32 v2, 4, v0
	v_or_b32_e32 v43, v2, v0
	buffer_store_dword v43, off, s[0:3], s33 offset:100
.LBB2_114:
	s_or_b64 exec, exec, s[8:9]
	s_and_b64 s[8:9], s[10:11], exec
	s_andn2_saveexec_b64 s[6:7], s[6:7]
	s_cbranch_execnz .LBB2_239
.LBB2_115:
	s_or_b64 exec, exec, s[6:7]
	s_and_saveexec_b64 s[6:7], s[8:9]
	s_cbranch_execz .LBB2_244
.LBB2_116:
	v_add_u32_e32 v0, -6, v55
	v_lshlrev_b32_e64 v0, v0, 1
	s_mov_b32 s10, 0
	s_mov_b64 s[8:9], 0
.LBB2_117:                              ; =>This Inner Loop Header: Depth=1
	s_add_i32 s11, s10, 1
	v_cmp_eq_u32_e32 vcc, s11, v0
	v_mov_b32_e32 v2, s10
	s_or_b64 s[8:9], vcc, s[8:9]
	s_mov_b32 s10, s11
	s_andn2_b64 exec, exec, s[8:9]
	s_cbranch_execnz .LBB2_117
; %bb.118:
	s_or_b64 exec, exec, s[8:9]
	v_lshrrev_b32_e64 v3, 6, s33
	v_lshlrev_b32_e32 v0, 2, v0
	v_lshlrev_b32_e32 v2, 2, v2
	v_add_u32_e32 v3, 0x64, v3
	v_add3_u32 v0, v3, v0, v2
	buffer_load_dword v43, v0, s[0:3], 0 offen
	s_andn2_b64 s[4:5], s[4:5], exec
	s_waitcnt vmcnt(0)
	buffer_store_dword v43, off, s[0:3], s33 offset:100
	s_or_b64 exec, exec, s[6:7]
	s_and_saveexec_b64 s[6:7], s[4:5]
	s_cbranch_execnz .LBB2_245
	s_branch .LBB2_246
.LBB2_119:
	s_or_b64 exec, exec, s[48:49]
	s_and_saveexec_b64 s[4:5], s[44:45]
	s_xor_b64 s[28:29], exec, s[4:5]
	s_cbranch_execz .LBB2_121
.LBB2_120:
	s_getpc_b64 s[4:5]
	s_add_u32 s4, s4, .str.24@rel32@lo+4
	s_addc_u32 s5, s5, .str.24@rel32@hi+12
	s_getpc_b64 s[6:7]
	s_add_u32 s6, s6, .str.25@rel32@lo+4
	s_addc_u32 s7, s7, .str.25@rel32@hi+12
	s_getpc_b64 s[10:11]
	s_add_u32 s10, s10, __PRETTY_FUNCTION__._ZN9truthUtil12varInSupportEPKjii@rel32@lo+4
	s_addc_u32 s11, s11, __PRETTY_FUNCTION__._ZN9truthUtil12varInSupportEPKjii@rel32@hi+12
	s_mov_b64 s[8:9], s[34:35]
	v_mov_b32_e32 v0, s4
	v_mov_b32_e32 v1, s5
	;; [unrolled: 1-line block ×7, first 2 shown]
	s_getpc_b64 s[12:13]
	s_add_u32 s12, s12, __assert_fail@rel32@lo+4
	s_addc_u32 s13, s13, __assert_fail@rel32@hi+12
	s_swappc_b64 s[30:31], s[12:13]
	s_or_b64 s[46:47], s[46:47], exec
                                        ; implicit-def: $vgpr0
.LBB2_121:
	s_or_b64 exec, exec, s[28:29]
	s_andn2_b64 s[4:5], s[36:37], exec
	s_and_b64 s[6:7], s[46:47], exec
	s_and_b64 s[26:27], s[26:27], exec
	s_or_b64 s[28:29], s[4:5], s[6:7]
                                        ; implicit-def: $vgpr58_vgpr59
.LBB2_122:
	s_andn2_saveexec_b64 s[42:43], s[42:43]
	s_cbranch_execz .LBB2_389
; %bb.123:
	v_mov_b32_e32 v0, 0
	v_mov_b32_e32 v1, 1
	flat_store_dwordx2 v[46:47], v[0:1]
	flat_load_dword v2, v[58:59]
	s_movk_i32 s4, 0x2000
	s_mov_b64 s[44:45], s[26:27]
                                        ; implicit-def: $sgpr48
	s_waitcnt vmcnt(0) lgkmcnt(0)
	v_cmp_gt_i32_e32 vcc, s4, v2
	s_and_saveexec_b64 s[4:5], vcc
	s_xor_b64 s[4:5], exec, s[4:5]
	s_cbranch_execz .LBB2_125
; %bb.124:
	v_ashrrev_i32_e32 v3, 31, v2
	v_add_u32_e32 v1, 1, v2
	v_lshlrev_b64 v[2:3], 2, v[2:3]
	v_add_co_u32_e32 v2, vcc, v58, v2
	v_addc_co_u32_e32 v3, vcc, v59, v3, vcc
	v_add_co_u32_e32 v4, vcc, 4, v2
	v_addc_co_u32_e32 v5, vcc, 0, v3, vcc
	flat_store_dword v[58:59], v1
	flat_store_dwordx2 v[46:47], v[4:5] offset:8
	flat_store_dword v[2:3], v0 offset:4
	s_mov_b32 s48, -1
	s_or_b64 s[44:45], s[26:27], exec
.LBB2_125:
	s_or_saveexec_b64 s[46:47], s[4:5]
	s_mov_b64 s[4:5], s[28:29]
	s_xor_b64 exec, exec, s[46:47]
	s_cbranch_execz .LBB2_388
; %bb.126:
	s_load_dwordx2 s[6:7], s[34:35], 0x50
	v_mbcnt_lo_u32_b32 v0, -1, 0
	v_mbcnt_hi_u32_b32 v31, -1, v0
	v_readfirstlane_b32 s4, v31
	v_cmp_eq_u32_e64 s[4:5], s4, v31
	v_pk_mov_b32 v[6:7], 0, 0
	s_and_saveexec_b64 s[8:9], s[4:5]
	s_cbranch_execz .LBB2_132
; %bb.127:
	v_mov_b32_e32 v0, 0
	s_waitcnt lgkmcnt(0)
	global_load_dwordx2 v[4:5], v0, s[6:7] offset:24 glc
	s_waitcnt vmcnt(0)
	buffer_invl2
	buffer_wbinvl1_vol
	global_load_dwordx2 v[2:3], v0, s[6:7] offset:40
	global_load_dwordx2 v[6:7], v0, s[6:7]
	s_waitcnt vmcnt(1)
	v_and_b32_e32 v1, v2, v4
	v_and_b32_e32 v2, v3, v5
	v_mul_lo_u32 v2, v2, 24
	v_mul_hi_u32 v3, v1, 24
	v_mul_lo_u32 v1, v1, 24
	v_add_u32_e32 v3, v3, v2
	s_waitcnt vmcnt(0)
	v_add_co_u32_e32 v2, vcc, v6, v1
	v_addc_co_u32_e32 v3, vcc, v7, v3, vcc
	global_load_dwordx2 v[2:3], v[2:3], off glc
	s_waitcnt vmcnt(0)
	global_atomic_cmpswap_x2 v[6:7], v0, v[2:5], s[6:7] offset:24 glc
	s_waitcnt vmcnt(0)
	buffer_invl2
	buffer_wbinvl1_vol
	v_cmp_ne_u64_e32 vcc, v[6:7], v[4:5]
	s_and_saveexec_b64 s[10:11], vcc
	s_cbranch_execz .LBB2_131
; %bb.128:
	s_mov_b64 s[12:13], 0
.LBB2_129:                              ; =>This Inner Loop Header: Depth=1
	s_sleep 1
	global_load_dwordx2 v[2:3], v0, s[6:7] offset:40
	global_load_dwordx2 v[8:9], v0, s[6:7]
	v_pk_mov_b32 v[4:5], v[6:7], v[6:7] op_sel:[0,1]
	s_waitcnt vmcnt(1)
	v_and_b32_e32 v2, v2, v4
	v_and_b32_e32 v1, v3, v5
	s_waitcnt vmcnt(0)
	v_mad_u64_u32 v[2:3], s[14:15], v2, 24, v[8:9]
	v_mov_b32_e32 v6, v3
	v_mad_u64_u32 v[6:7], s[14:15], v1, 24, v[6:7]
	v_mov_b32_e32 v3, v6
	global_load_dwordx2 v[2:3], v[2:3], off glc
	s_waitcnt vmcnt(0)
	global_atomic_cmpswap_x2 v[6:7], v0, v[2:5], s[6:7] offset:24 glc
	s_waitcnt vmcnt(0)
	buffer_invl2
	buffer_wbinvl1_vol
	v_cmp_eq_u64_e32 vcc, v[6:7], v[4:5]
	s_or_b64 s[12:13], vcc, s[12:13]
	s_andn2_b64 exec, exec, s[12:13]
	s_cbranch_execnz .LBB2_129
; %bb.130:
	s_or_b64 exec, exec, s[12:13]
.LBB2_131:
	s_or_b64 exec, exec, s[10:11]
.LBB2_132:
	s_or_b64 exec, exec, s[8:9]
	v_mov_b32_e32 v5, 0
	s_waitcnt lgkmcnt(0)
	global_load_dwordx2 v[8:9], v5, s[6:7] offset:40
	global_load_dwordx4 v[0:3], v5, s[6:7]
	v_readfirstlane_b32 s8, v6
	v_readfirstlane_b32 s9, v7
	s_mov_b64 s[10:11], exec
	s_waitcnt vmcnt(0)
	v_readfirstlane_b32 s12, v8
	v_readfirstlane_b32 s13, v9
	s_and_b64 s[12:13], s[8:9], s[12:13]
	s_mul_i32 s14, s13, 24
	s_mul_hi_u32 s15, s12, 24
	s_mul_i32 s16, s12, 24
	s_add_i32 s14, s15, s14
	v_mov_b32_e32 v4, s14
	v_add_co_u32_e32 v8, vcc, s16, v0
	v_addc_co_u32_e32 v9, vcc, v1, v4, vcc
	s_and_saveexec_b64 s[14:15], s[4:5]
	s_cbranch_execz .LBB2_134
; %bb.133:
	v_pk_mov_b32 v[10:11], s[10:11], s[10:11] op_sel:[0,1]
	v_mov_b32_e32 v12, 2
	v_mov_b32_e32 v13, 1
	global_store_dwordx4 v[8:9], v[10:13], off offset:8
.LBB2_134:
	s_or_b64 exec, exec, s[14:15]
	s_lshl_b64 s[10:11], s[12:13], 12
	v_mov_b32_e32 v4, s11
	v_add_co_u32_e32 v2, vcc, s10, v2
	v_addc_co_u32_e32 v3, vcc, v3, v4, vcc
	s_mov_b32 s12, 0
	v_lshlrev_b32_e32 v30, 6, v31
	v_add_co_u32_e32 v10, vcc, v2, v30
	v_mov_b32_e32 v4, 33
	v_mov_b32_e32 v6, v5
	;; [unrolled: 1-line block ×3, first 2 shown]
	v_readfirstlane_b32 s10, v2
	v_readfirstlane_b32 s11, v3
	s_mov_b32 s13, s12
	v_addc_co_u32_e32 v11, vcc, 0, v3, vcc
	s_mov_b32 s14, s12
	s_mov_b32 s15, s12
	s_nop 0
	global_store_dwordx4 v30, v[4:7], s[10:11]
	v_pk_mov_b32 v[2:3], s[12:13], s[12:13] op_sel:[0,1]
	v_pk_mov_b32 v[4:5], s[14:15], s[14:15] op_sel:[0,1]
	global_store_dwordx4 v30, v[2:5], s[10:11] offset:16
	global_store_dwordx4 v30, v[2:5], s[10:11] offset:32
	;; [unrolled: 1-line block ×3, first 2 shown]
	s_and_saveexec_b64 s[10:11], s[4:5]
	s_cbranch_execz .LBB2_142
; %bb.135:
	v_mov_b32_e32 v6, 0
	global_load_dwordx2 v[14:15], v6, s[6:7] offset:32 glc
	global_load_dwordx2 v[2:3], v6, s[6:7] offset:40
	v_mov_b32_e32 v12, s8
	v_mov_b32_e32 v13, s9
	s_waitcnt vmcnt(0)
	v_and_b32_e32 v2, s8, v2
	v_and_b32_e32 v3, s9, v3
	v_mul_lo_u32 v3, v3, 24
	v_mul_hi_u32 v4, v2, 24
	v_mul_lo_u32 v2, v2, 24
	v_add_u32_e32 v3, v4, v3
	v_add_co_u32_e32 v4, vcc, v0, v2
	v_addc_co_u32_e32 v5, vcc, v1, v3, vcc
	global_store_dwordx2 v[4:5], v[14:15], off
	buffer_wbl2
	s_waitcnt vmcnt(0)
	global_atomic_cmpswap_x2 v[2:3], v6, v[12:15], s[6:7] offset:32 glc
	s_waitcnt vmcnt(0)
	v_cmp_ne_u64_e32 vcc, v[2:3], v[14:15]
	s_and_saveexec_b64 s[12:13], vcc
	s_cbranch_execz .LBB2_138
; %bb.136:
	s_mov_b64 s[14:15], 0
.LBB2_137:                              ; =>This Inner Loop Header: Depth=1
	s_sleep 1
	global_store_dwordx2 v[4:5], v[2:3], off
	v_mov_b32_e32 v0, s8
	v_mov_b32_e32 v1, s9
	buffer_wbl2
	s_waitcnt vmcnt(0)
	global_atomic_cmpswap_x2 v[0:1], v6, v[0:3], s[6:7] offset:32 glc
	s_waitcnt vmcnt(0)
	v_cmp_eq_u64_e32 vcc, v[0:1], v[2:3]
	s_or_b64 s[14:15], vcc, s[14:15]
	v_pk_mov_b32 v[2:3], v[0:1], v[0:1] op_sel:[0,1]
	s_andn2_b64 exec, exec, s[14:15]
	s_cbranch_execnz .LBB2_137
.LBB2_138:
	s_or_b64 exec, exec, s[12:13]
	v_mov_b32_e32 v3, 0
	global_load_dwordx2 v[0:1], v3, s[6:7] offset:16
	s_mov_b64 s[12:13], exec
	v_mbcnt_lo_u32_b32 v2, s12, 0
	v_mbcnt_hi_u32_b32 v2, s13, v2
	v_cmp_eq_u32_e32 vcc, 0, v2
	s_and_saveexec_b64 s[14:15], vcc
	s_cbranch_execz .LBB2_140
; %bb.139:
	s_bcnt1_i32_b64 s12, s[12:13]
	v_mov_b32_e32 v2, s12
	buffer_wbl2
	s_waitcnt vmcnt(0)
	global_atomic_add_x2 v[0:1], v[2:3], off offset:8
.LBB2_140:
	s_or_b64 exec, exec, s[14:15]
	s_waitcnt vmcnt(0)
	global_load_dwordx2 v[2:3], v[0:1], off offset:16
	s_waitcnt vmcnt(0)
	v_cmp_eq_u64_e32 vcc, 0, v[2:3]
	s_cbranch_vccnz .LBB2_142
; %bb.141:
	global_load_dword v0, v[0:1], off offset:24
	v_mov_b32_e32 v1, 0
	buffer_wbl2
	s_waitcnt vmcnt(0)
	global_store_dwordx2 v[2:3], v[0:1], off
	v_and_b32_e32 v0, 0xffffff, v0
	v_readfirstlane_b32 m0, v0
	s_sendmsg sendmsg(MSG_INTERRUPT)
.LBB2_142:
	s_or_b64 exec, exec, s[10:11]
	s_branch .LBB2_144
.LBB2_143:
	s_branch .LBB2_148
.LBB2_144:                              ; =>This Inner Loop Header: Depth=1
	v_mov_b32_e32 v0, 1
	s_and_saveexec_b64 s[10:11], s[4:5]
	s_cbranch_execz .LBB2_146
; %bb.145:                              ;   in Loop: Header=BB2_144 Depth=1
	global_load_dword v0, v[8:9], off offset:20 glc
	s_waitcnt vmcnt(0)
	buffer_invl2
	buffer_wbinvl1_vol
	v_and_b32_e32 v0, 1, v0
.LBB2_146:                              ;   in Loop: Header=BB2_144 Depth=1
	s_or_b64 exec, exec, s[10:11]
	v_readfirstlane_b32 s10, v0
	s_cmp_eq_u32 s10, 0
	s_cbranch_scc1 .LBB2_143
; %bb.147:                              ;   in Loop: Header=BB2_144 Depth=1
	s_sleep 1
	s_cbranch_execnz .LBB2_144
.LBB2_148:
	global_load_dwordx2 v[0:1], v[10:11], off
	s_and_saveexec_b64 s[10:11], s[4:5]
	s_cbranch_execz .LBB2_151
; %bb.149:
	v_mov_b32_e32 v8, 0
	global_load_dwordx2 v[6:7], v8, s[6:7] offset:40
	global_load_dwordx2 v[10:11], v8, s[6:7] offset:24 glc
	global_load_dwordx2 v[12:13], v8, s[6:7]
	v_mov_b32_e32 v3, s9
	s_mov_b64 s[4:5], 0
	s_waitcnt vmcnt(2)
	v_add_co_u32_e32 v5, vcc, 1, v6
	v_addc_co_u32_e32 v9, vcc, 0, v7, vcc
	v_add_co_u32_e32 v2, vcc, s8, v5
	v_addc_co_u32_e32 v3, vcc, v9, v3, vcc
	v_cmp_eq_u64_e32 vcc, 0, v[2:3]
	v_cndmask_b32_e32 v3, v3, v9, vcc
	v_cndmask_b32_e32 v2, v2, v5, vcc
	v_and_b32_e32 v5, v3, v7
	v_and_b32_e32 v6, v2, v6
	v_mul_lo_u32 v5, v5, 24
	v_mul_hi_u32 v7, v6, 24
	v_mul_lo_u32 v6, v6, 24
	v_add_u32_e32 v5, v7, v5
	s_waitcnt vmcnt(0)
	v_add_co_u32_e32 v6, vcc, v12, v6
	v_addc_co_u32_e32 v7, vcc, v13, v5, vcc
	v_mov_b32_e32 v4, v10
	global_store_dwordx2 v[6:7], v[10:11], off
	v_mov_b32_e32 v5, v11
	buffer_wbl2
	s_waitcnt vmcnt(0)
	global_atomic_cmpswap_x2 v[4:5], v8, v[2:5], s[6:7] offset:24 glc
	s_waitcnt vmcnt(0)
	v_cmp_ne_u64_e32 vcc, v[4:5], v[10:11]
	s_and_b64 exec, exec, vcc
	s_cbranch_execz .LBB2_151
.LBB2_150:                              ; =>This Inner Loop Header: Depth=1
	s_sleep 1
	global_store_dwordx2 v[6:7], v[4:5], off
	buffer_wbl2
	s_waitcnt vmcnt(0)
	global_atomic_cmpswap_x2 v[10:11], v8, v[2:5], s[6:7] offset:24 glc
	s_waitcnt vmcnt(0)
	v_cmp_eq_u64_e32 vcc, v[10:11], v[4:5]
	s_or_b64 s[4:5], vcc, s[4:5]
	v_pk_mov_b32 v[4:5], v[10:11], v[10:11] op_sel:[0,1]
	s_andn2_b64 exec, exec, s[4:5]
	s_cbranch_execnz .LBB2_150
.LBB2_151:
	s_or_b64 exec, exec, s[10:11]
	s_getpc_b64 s[8:9]
	s_add_u32 s8, s8, .str.28@rel32@lo+4
	s_addc_u32 s9, s9, .str.28@rel32@hi+12
	s_cmp_lg_u64 s[8:9], 0
	s_cbranch_scc0 .LBB2_360
; %bb.152:
	s_waitcnt vmcnt(0)
	v_and_b32_e32 v6, -3, v0
	v_mov_b32_e32 v7, v1
	s_mov_b64 s[10:11], 35
	v_mov_b32_e32 v27, 0
	v_mov_b32_e32 v4, 2
	;; [unrolled: 1-line block ×3, first 2 shown]
	s_branch .LBB2_154
.LBB2_153:                              ;   in Loop: Header=BB2_154 Depth=1
	s_or_b64 exec, exec, s[16:17]
	s_sub_u32 s10, s10, s12
	s_subb_u32 s11, s11, s13
	s_add_u32 s8, s8, s12
	s_addc_u32 s9, s9, s13
	s_cmp_lg_u64 s[10:11], 0
	s_cbranch_scc0 .LBB2_359
.LBB2_154:                              ; =>This Loop Header: Depth=1
                                        ;     Child Loop BB2_157 Depth 2
                                        ;     Child Loop BB2_164 Depth 2
	;; [unrolled: 1-line block ×11, first 2 shown]
	v_cmp_lt_u64_e64 s[4:5], s[10:11], 56
	s_and_b64 s[4:5], s[4:5], exec
	v_cmp_gt_u64_e64 s[4:5], s[10:11], 7
	s_cselect_b32 s13, s11, 0
	s_cselect_b32 s12, s10, 56
	s_and_b64 vcc, exec, s[4:5]
	s_cbranch_vccnz .LBB2_159
; %bb.155:                              ;   in Loop: Header=BB2_154 Depth=1
	s_mov_b64 s[4:5], 0
	s_cmp_eq_u64 s[10:11], 0
	s_waitcnt vmcnt(0)
	v_pk_mov_b32 v[8:9], 0, 0
	s_cbranch_scc1 .LBB2_158
; %bb.156:                              ;   in Loop: Header=BB2_154 Depth=1
	s_lshl_b64 s[14:15], s[12:13], 3
	s_mov_b64 s[16:17], 0
	v_pk_mov_b32 v[8:9], 0, 0
	s_mov_b64 s[18:19], s[8:9]
.LBB2_157:                              ;   Parent Loop BB2_154 Depth=1
                                        ; =>  This Inner Loop Header: Depth=2
	global_load_ubyte v2, v27, s[18:19]
	s_waitcnt vmcnt(0)
	v_and_b32_e32 v26, 0xffff, v2
	v_lshlrev_b64 v[2:3], s16, v[26:27]
	s_add_u32 s16, s16, 8
	s_addc_u32 s17, s17, 0
	s_add_u32 s18, s18, 1
	s_addc_u32 s19, s19, 0
	v_or_b32_e32 v8, v2, v8
	s_cmp_lg_u32 s14, s16
	v_or_b32_e32 v9, v3, v9
	s_cbranch_scc1 .LBB2_157
.LBB2_158:                              ;   in Loop: Header=BB2_154 Depth=1
	s_mov_b32 s18, 0
	s_andn2_b64 vcc, exec, s[4:5]
	s_mov_b64 s[4:5], s[8:9]
	s_cbranch_vccz .LBB2_160
	s_branch .LBB2_161
.LBB2_159:                              ;   in Loop: Header=BB2_154 Depth=1
                                        ; implicit-def: $sgpr18
	s_mov_b64 s[4:5], s[8:9]
.LBB2_160:                              ;   in Loop: Header=BB2_154 Depth=1
	global_load_dwordx2 v[8:9], v27, s[8:9]
	s_add_i32 s18, s12, -8
	s_add_u32 s4, s8, 8
	s_addc_u32 s5, s9, 0
.LBB2_161:                              ;   in Loop: Header=BB2_154 Depth=1
	s_cmp_gt_u32 s18, 7
	s_cbranch_scc1 .LBB2_223
; %bb.162:                              ;   in Loop: Header=BB2_154 Depth=1
	s_cmp_eq_u32 s18, 0
	s_cbranch_scc1 .LBB2_229
; %bb.163:                              ;   in Loop: Header=BB2_154 Depth=1
	s_mov_b64 s[14:15], 0
	v_pk_mov_b32 v[10:11], 0, 0
	s_mov_b64 s[16:17], 0
.LBB2_164:                              ;   Parent Loop BB2_154 Depth=1
                                        ; =>  This Inner Loop Header: Depth=2
	s_add_u32 s20, s4, s16
	s_addc_u32 s21, s5, s17
	global_load_ubyte v2, v27, s[20:21]
	s_add_u32 s16, s16, 1
	s_addc_u32 s17, s17, 0
	s_waitcnt vmcnt(0)
	v_and_b32_e32 v26, 0xffff, v2
	v_lshlrev_b64 v[2:3], s14, v[26:27]
	s_add_u32 s14, s14, 8
	s_addc_u32 s15, s15, 0
	v_or_b32_e32 v10, v2, v10
	s_cmp_lg_u32 s18, s16
	v_or_b32_e32 v11, v3, v11
	s_cbranch_scc1 .LBB2_164
; %bb.165:                              ;   in Loop: Header=BB2_154 Depth=1
	s_mov_b32 s19, 0
	s_cbranch_execnz .LBB2_167
.LBB2_166:                              ;   in Loop: Header=BB2_154 Depth=1
	global_load_dwordx2 v[10:11], v27, s[4:5]
	s_add_i32 s19, s18, -8
	s_add_u32 s4, s4, 8
	s_addc_u32 s5, s5, 0
.LBB2_167:                              ;   in Loop: Header=BB2_154 Depth=1
	s_cmp_gt_u32 s19, 7
	s_cbranch_scc1 .LBB2_224
; %bb.168:                              ;   in Loop: Header=BB2_154 Depth=1
	s_cmp_eq_u32 s19, 0
	s_cbranch_scc1 .LBB2_230
; %bb.169:                              ;   in Loop: Header=BB2_154 Depth=1
	s_mov_b64 s[14:15], 0
	v_pk_mov_b32 v[12:13], 0, 0
	s_mov_b64 s[16:17], 0
.LBB2_170:                              ;   Parent Loop BB2_154 Depth=1
                                        ; =>  This Inner Loop Header: Depth=2
	s_add_u32 s20, s4, s16
	s_addc_u32 s21, s5, s17
	global_load_ubyte v2, v27, s[20:21]
	s_add_u32 s16, s16, 1
	s_addc_u32 s17, s17, 0
	s_waitcnt vmcnt(0)
	v_and_b32_e32 v26, 0xffff, v2
	v_lshlrev_b64 v[2:3], s14, v[26:27]
	s_add_u32 s14, s14, 8
	s_addc_u32 s15, s15, 0
	v_or_b32_e32 v12, v2, v12
	s_cmp_lg_u32 s19, s16
	v_or_b32_e32 v13, v3, v13
	s_cbranch_scc1 .LBB2_170
; %bb.171:                              ;   in Loop: Header=BB2_154 Depth=1
	s_mov_b32 s18, 0
	s_cbranch_execnz .LBB2_173
.LBB2_172:                              ;   in Loop: Header=BB2_154 Depth=1
	global_load_dwordx2 v[12:13], v27, s[4:5]
	s_add_i32 s18, s19, -8
	s_add_u32 s4, s4, 8
	s_addc_u32 s5, s5, 0
.LBB2_173:                              ;   in Loop: Header=BB2_154 Depth=1
	s_cmp_gt_u32 s18, 7
	s_cbranch_scc1 .LBB2_225
; %bb.174:                              ;   in Loop: Header=BB2_154 Depth=1
	s_cmp_eq_u32 s18, 0
	s_cbranch_scc1 .LBB2_231
; %bb.175:                              ;   in Loop: Header=BB2_154 Depth=1
	s_mov_b64 s[14:15], 0
	v_pk_mov_b32 v[14:15], 0, 0
	s_mov_b64 s[16:17], 0
.LBB2_176:                              ;   Parent Loop BB2_154 Depth=1
                                        ; =>  This Inner Loop Header: Depth=2
	s_add_u32 s20, s4, s16
	s_addc_u32 s21, s5, s17
	global_load_ubyte v2, v27, s[20:21]
	s_add_u32 s16, s16, 1
	s_addc_u32 s17, s17, 0
	s_waitcnt vmcnt(0)
	v_and_b32_e32 v26, 0xffff, v2
	v_lshlrev_b64 v[2:3], s14, v[26:27]
	s_add_u32 s14, s14, 8
	s_addc_u32 s15, s15, 0
	v_or_b32_e32 v14, v2, v14
	s_cmp_lg_u32 s18, s16
	v_or_b32_e32 v15, v3, v15
	s_cbranch_scc1 .LBB2_176
; %bb.177:                              ;   in Loop: Header=BB2_154 Depth=1
	s_mov_b32 s19, 0
	s_cbranch_execnz .LBB2_179
.LBB2_178:                              ;   in Loop: Header=BB2_154 Depth=1
	global_load_dwordx2 v[14:15], v27, s[4:5]
	s_add_i32 s19, s18, -8
	s_add_u32 s4, s4, 8
	s_addc_u32 s5, s5, 0
.LBB2_179:                              ;   in Loop: Header=BB2_154 Depth=1
	s_cmp_gt_u32 s19, 7
	s_cbranch_scc1 .LBB2_226
; %bb.180:                              ;   in Loop: Header=BB2_154 Depth=1
	s_cmp_eq_u32 s19, 0
	s_cbranch_scc1 .LBB2_232
; %bb.181:                              ;   in Loop: Header=BB2_154 Depth=1
	s_mov_b64 s[14:15], 0
	v_pk_mov_b32 v[16:17], 0, 0
	s_mov_b64 s[16:17], 0
.LBB2_182:                              ;   Parent Loop BB2_154 Depth=1
                                        ; =>  This Inner Loop Header: Depth=2
	s_add_u32 s20, s4, s16
	s_addc_u32 s21, s5, s17
	global_load_ubyte v2, v27, s[20:21]
	s_add_u32 s16, s16, 1
	s_addc_u32 s17, s17, 0
	s_waitcnt vmcnt(0)
	v_and_b32_e32 v26, 0xffff, v2
	v_lshlrev_b64 v[2:3], s14, v[26:27]
	s_add_u32 s14, s14, 8
	s_addc_u32 s15, s15, 0
	v_or_b32_e32 v16, v2, v16
	s_cmp_lg_u32 s19, s16
	v_or_b32_e32 v17, v3, v17
	s_cbranch_scc1 .LBB2_182
; %bb.183:                              ;   in Loop: Header=BB2_154 Depth=1
	s_mov_b32 s18, 0
	s_cbranch_execnz .LBB2_185
.LBB2_184:                              ;   in Loop: Header=BB2_154 Depth=1
	global_load_dwordx2 v[16:17], v27, s[4:5]
	s_add_i32 s18, s19, -8
	s_add_u32 s4, s4, 8
	s_addc_u32 s5, s5, 0
.LBB2_185:                              ;   in Loop: Header=BB2_154 Depth=1
	s_cmp_gt_u32 s18, 7
	s_cbranch_scc1 .LBB2_227
; %bb.186:                              ;   in Loop: Header=BB2_154 Depth=1
	s_cmp_eq_u32 s18, 0
	s_cbranch_scc1 .LBB2_233
; %bb.187:                              ;   in Loop: Header=BB2_154 Depth=1
	s_mov_b64 s[14:15], 0
	v_pk_mov_b32 v[18:19], 0, 0
	s_mov_b64 s[16:17], 0
.LBB2_188:                              ;   Parent Loop BB2_154 Depth=1
                                        ; =>  This Inner Loop Header: Depth=2
	s_add_u32 s20, s4, s16
	s_addc_u32 s21, s5, s17
	global_load_ubyte v2, v27, s[20:21]
	s_add_u32 s16, s16, 1
	s_addc_u32 s17, s17, 0
	s_waitcnt vmcnt(0)
	v_and_b32_e32 v26, 0xffff, v2
	v_lshlrev_b64 v[2:3], s14, v[26:27]
	s_add_u32 s14, s14, 8
	s_addc_u32 s15, s15, 0
	v_or_b32_e32 v18, v2, v18
	s_cmp_lg_u32 s18, s16
	v_or_b32_e32 v19, v3, v19
	s_cbranch_scc1 .LBB2_188
; %bb.189:                              ;   in Loop: Header=BB2_154 Depth=1
	s_mov_b32 s19, 0
	s_cbranch_execnz .LBB2_191
.LBB2_190:                              ;   in Loop: Header=BB2_154 Depth=1
	global_load_dwordx2 v[18:19], v27, s[4:5]
	s_add_i32 s19, s18, -8
	s_add_u32 s4, s4, 8
	s_addc_u32 s5, s5, 0
.LBB2_191:                              ;   in Loop: Header=BB2_154 Depth=1
	s_cmp_gt_u32 s19, 7
	s_cbranch_scc1 .LBB2_228
; %bb.192:                              ;   in Loop: Header=BB2_154 Depth=1
	s_cmp_eq_u32 s19, 0
	s_cbranch_scc1 .LBB2_234
; %bb.193:                              ;   in Loop: Header=BB2_154 Depth=1
	s_mov_b64 s[14:15], 0
	v_pk_mov_b32 v[20:21], 0, 0
	s_mov_b64 s[16:17], s[4:5]
.LBB2_194:                              ;   Parent Loop BB2_154 Depth=1
                                        ; =>  This Inner Loop Header: Depth=2
	global_load_ubyte v2, v27, s[16:17]
	s_add_i32 s19, s19, -1
	s_waitcnt vmcnt(0)
	v_and_b32_e32 v26, 0xffff, v2
	v_lshlrev_b64 v[2:3], s14, v[26:27]
	s_add_u32 s14, s14, 8
	s_addc_u32 s15, s15, 0
	s_add_u32 s16, s16, 1
	s_addc_u32 s17, s17, 0
	v_or_b32_e32 v20, v2, v20
	s_cmp_lg_u32 s19, 0
	v_or_b32_e32 v21, v3, v21
	s_cbranch_scc1 .LBB2_194
; %bb.195:                              ;   in Loop: Header=BB2_154 Depth=1
	s_cbranch_execnz .LBB2_197
.LBB2_196:                              ;   in Loop: Header=BB2_154 Depth=1
	global_load_dwordx2 v[20:21], v27, s[4:5]
.LBB2_197:                              ;   in Loop: Header=BB2_154 Depth=1
	v_readfirstlane_b32 s4, v31
	v_cmp_eq_u32_e64 s[4:5], s4, v31
	v_pk_mov_b32 v[2:3], 0, 0
	s_and_saveexec_b64 s[14:15], s[4:5]
	s_cbranch_execz .LBB2_203
; %bb.198:                              ;   in Loop: Header=BB2_154 Depth=1
	global_load_dwordx2 v[24:25], v27, s[6:7] offset:24 glc
	s_waitcnt vmcnt(0)
	buffer_invl2
	buffer_wbinvl1_vol
	global_load_dwordx2 v[2:3], v27, s[6:7] offset:40
	global_load_dwordx2 v[22:23], v27, s[6:7]
	s_waitcnt vmcnt(1)
	v_and_b32_e32 v2, v2, v24
	v_and_b32_e32 v3, v3, v25
	v_mul_lo_u32 v3, v3, 24
	v_mul_hi_u32 v26, v2, 24
	v_mul_lo_u32 v2, v2, 24
	v_add_u32_e32 v3, v26, v3
	s_waitcnt vmcnt(0)
	v_add_co_u32_e32 v2, vcc, v22, v2
	v_addc_co_u32_e32 v3, vcc, v23, v3, vcc
	global_load_dwordx2 v[22:23], v[2:3], off glc
	s_waitcnt vmcnt(0)
	global_atomic_cmpswap_x2 v[2:3], v27, v[22:25], s[6:7] offset:24 glc
	s_waitcnt vmcnt(0)
	buffer_invl2
	buffer_wbinvl1_vol
	v_cmp_ne_u64_e32 vcc, v[2:3], v[24:25]
	s_and_saveexec_b64 s[16:17], vcc
	s_cbranch_execz .LBB2_202
; %bb.199:                              ;   in Loop: Header=BB2_154 Depth=1
	s_mov_b64 s[18:19], 0
.LBB2_200:                              ;   Parent Loop BB2_154 Depth=1
                                        ; =>  This Inner Loop Header: Depth=2
	s_sleep 1
	global_load_dwordx2 v[22:23], v27, s[6:7] offset:40
	global_load_dwordx2 v[28:29], v27, s[6:7]
	v_pk_mov_b32 v[24:25], v[2:3], v[2:3] op_sel:[0,1]
	s_waitcnt vmcnt(1)
	v_and_b32_e32 v2, v22, v24
	s_waitcnt vmcnt(0)
	v_mad_u64_u32 v[2:3], s[20:21], v2, 24, v[28:29]
	v_and_b32_e32 v23, v23, v25
	v_mov_b32_e32 v22, v3
	v_mad_u64_u32 v[22:23], s[20:21], v23, 24, v[22:23]
	v_mov_b32_e32 v3, v22
	global_load_dwordx2 v[22:23], v[2:3], off glc
	s_waitcnt vmcnt(0)
	global_atomic_cmpswap_x2 v[2:3], v27, v[22:25], s[6:7] offset:24 glc
	s_waitcnt vmcnt(0)
	buffer_invl2
	buffer_wbinvl1_vol
	v_cmp_eq_u64_e32 vcc, v[2:3], v[24:25]
	s_or_b64 s[18:19], vcc, s[18:19]
	s_andn2_b64 exec, exec, s[18:19]
	s_cbranch_execnz .LBB2_200
; %bb.201:                              ;   in Loop: Header=BB2_154 Depth=1
	s_or_b64 exec, exec, s[18:19]
.LBB2_202:                              ;   in Loop: Header=BB2_154 Depth=1
	s_or_b64 exec, exec, s[16:17]
.LBB2_203:                              ;   in Loop: Header=BB2_154 Depth=1
	s_or_b64 exec, exec, s[14:15]
	global_load_dwordx2 v[28:29], v27, s[6:7] offset:40
	global_load_dwordx4 v[22:25], v27, s[6:7]
	v_readfirstlane_b32 s14, v2
	v_readfirstlane_b32 s15, v3
	s_mov_b64 s[16:17], exec
	s_waitcnt vmcnt(1)
	v_readfirstlane_b32 s18, v28
	v_readfirstlane_b32 s19, v29
	s_and_b64 s[18:19], s[14:15], s[18:19]
	s_mul_i32 s20, s19, 24
	s_mul_hi_u32 s21, s18, 24
	s_mul_i32 s22, s18, 24
	s_add_i32 s20, s21, s20
	v_mov_b32_e32 v2, s20
	s_waitcnt vmcnt(0)
	v_add_co_u32_e32 v28, vcc, s22, v22
	v_addc_co_u32_e32 v29, vcc, v23, v2, vcc
	s_and_saveexec_b64 s[20:21], s[4:5]
	s_cbranch_execz .LBB2_205
; %bb.204:                              ;   in Loop: Header=BB2_154 Depth=1
	v_pk_mov_b32 v[2:3], s[16:17], s[16:17] op_sel:[0,1]
	global_store_dwordx4 v[28:29], v[2:5], off offset:8
.LBB2_205:                              ;   in Loop: Header=BB2_154 Depth=1
	s_or_b64 exec, exec, s[20:21]
	s_lshl_b64 s[16:17], s[18:19], 12
	v_mov_b32_e32 v3, s17
	v_add_co_u32_e32 v2, vcc, s16, v24
	v_addc_co_u32_e32 v3, vcc, v25, v3, vcc
	v_or_b32_e32 v24, 2, v6
	v_cmp_gt_u64_e64 vcc, s[10:11], 56
	s_lshl_b32 s16, s12, 2
	v_cndmask_b32_e32 v6, v24, v6, vcc
	s_add_i32 s16, s16, 28
	s_and_b32 s16, s16, 0x1e0
	v_and_b32_e32 v6, 0xffffff1f, v6
	v_or_b32_e32 v6, s16, v6
	v_readfirstlane_b32 s16, v2
	v_readfirstlane_b32 s17, v3
	s_nop 4
	global_store_dwordx4 v30, v[6:9], s[16:17]
	global_store_dwordx4 v30, v[10:13], s[16:17] offset:16
	global_store_dwordx4 v30, v[14:17], s[16:17] offset:32
	;; [unrolled: 1-line block ×3, first 2 shown]
	s_and_saveexec_b64 s[16:17], s[4:5]
	s_cbranch_execz .LBB2_213
; %bb.206:                              ;   in Loop: Header=BB2_154 Depth=1
	global_load_dwordx2 v[14:15], v27, s[6:7] offset:32 glc
	global_load_dwordx2 v[6:7], v27, s[6:7] offset:40
	v_mov_b32_e32 v12, s14
	v_mov_b32_e32 v13, s15
	s_waitcnt vmcnt(0)
	v_readfirstlane_b32 s18, v6
	v_readfirstlane_b32 s19, v7
	s_and_b64 s[18:19], s[18:19], s[14:15]
	s_mul_i32 s19, s19, 24
	s_mul_hi_u32 s20, s18, 24
	s_mul_i32 s18, s18, 24
	s_add_i32 s19, s20, s19
	v_mov_b32_e32 v6, s19
	v_add_co_u32_e32 v10, vcc, s18, v22
	v_addc_co_u32_e32 v11, vcc, v23, v6, vcc
	global_store_dwordx2 v[10:11], v[14:15], off
	buffer_wbl2
	s_waitcnt vmcnt(0)
	global_atomic_cmpswap_x2 v[8:9], v27, v[12:15], s[6:7] offset:32 glc
	s_waitcnt vmcnt(0)
	v_cmp_ne_u64_e32 vcc, v[8:9], v[14:15]
	s_and_saveexec_b64 s[18:19], vcc
	s_cbranch_execz .LBB2_209
; %bb.207:                              ;   in Loop: Header=BB2_154 Depth=1
	s_mov_b64 s[20:21], 0
.LBB2_208:                              ;   Parent Loop BB2_154 Depth=1
                                        ; =>  This Inner Loop Header: Depth=2
	s_sleep 1
	global_store_dwordx2 v[10:11], v[8:9], off
	v_mov_b32_e32 v6, s14
	v_mov_b32_e32 v7, s15
	buffer_wbl2
	s_waitcnt vmcnt(0)
	global_atomic_cmpswap_x2 v[6:7], v27, v[6:9], s[6:7] offset:32 glc
	s_waitcnt vmcnt(0)
	v_cmp_eq_u64_e32 vcc, v[6:7], v[8:9]
	s_or_b64 s[20:21], vcc, s[20:21]
	v_pk_mov_b32 v[8:9], v[6:7], v[6:7] op_sel:[0,1]
	s_andn2_b64 exec, exec, s[20:21]
	s_cbranch_execnz .LBB2_208
.LBB2_209:                              ;   in Loop: Header=BB2_154 Depth=1
	s_or_b64 exec, exec, s[18:19]
	global_load_dwordx2 v[6:7], v27, s[6:7] offset:16
	s_mov_b64 s[20:21], exec
	v_mbcnt_lo_u32_b32 v8, s20, 0
	v_mbcnt_hi_u32_b32 v8, s21, v8
	v_cmp_eq_u32_e32 vcc, 0, v8
	s_and_saveexec_b64 s[18:19], vcc
	s_cbranch_execz .LBB2_211
; %bb.210:                              ;   in Loop: Header=BB2_154 Depth=1
	s_bcnt1_i32_b64 s20, s[20:21]
	v_mov_b32_e32 v26, s20
	buffer_wbl2
	s_waitcnt vmcnt(0)
	global_atomic_add_x2 v[6:7], v[26:27], off offset:8
.LBB2_211:                              ;   in Loop: Header=BB2_154 Depth=1
	s_or_b64 exec, exec, s[18:19]
	s_waitcnt vmcnt(0)
	global_load_dwordx2 v[8:9], v[6:7], off offset:16
	s_waitcnt vmcnt(0)
	v_cmp_eq_u64_e32 vcc, 0, v[8:9]
	s_cbranch_vccnz .LBB2_213
; %bb.212:                              ;   in Loop: Header=BB2_154 Depth=1
	global_load_dword v26, v[6:7], off offset:24
	s_waitcnt vmcnt(0)
	v_and_b32_e32 v6, 0xffffff, v26
	v_readfirstlane_b32 m0, v6
	buffer_wbl2
	global_store_dwordx2 v[8:9], v[26:27], off
	s_sendmsg sendmsg(MSG_INTERRUPT)
.LBB2_213:                              ;   in Loop: Header=BB2_154 Depth=1
	s_or_b64 exec, exec, s[16:17]
	v_add_co_u32_e32 v2, vcc, v2, v30
	v_addc_co_u32_e32 v3, vcc, 0, v3, vcc
	s_branch .LBB2_215
.LBB2_214:                              ;   in Loop: Header=BB2_154 Depth=1
	s_branch .LBB2_219
.LBB2_215:                              ;   Parent Loop BB2_154 Depth=1
                                        ; =>  This Inner Loop Header: Depth=2
	v_mov_b32_e32 v6, 1
	s_and_saveexec_b64 s[16:17], s[4:5]
	s_cbranch_execz .LBB2_217
; %bb.216:                              ;   in Loop: Header=BB2_215 Depth=2
	global_load_dword v6, v[28:29], off offset:20 glc
	s_waitcnt vmcnt(0)
	buffer_invl2
	buffer_wbinvl1_vol
	v_and_b32_e32 v6, 1, v6
.LBB2_217:                              ;   in Loop: Header=BB2_215 Depth=2
	s_or_b64 exec, exec, s[16:17]
	v_readfirstlane_b32 s16, v6
	s_cmp_eq_u32 s16, 0
	s_cbranch_scc1 .LBB2_214
; %bb.218:                              ;   in Loop: Header=BB2_215 Depth=2
	s_sleep 1
	s_cbranch_execnz .LBB2_215
.LBB2_219:                              ;   in Loop: Header=BB2_154 Depth=1
	global_load_dwordx4 v[6:9], v[2:3], off
	s_and_saveexec_b64 s[16:17], s[4:5]
	s_cbranch_execz .LBB2_153
; %bb.220:                              ;   in Loop: Header=BB2_154 Depth=1
	global_load_dwordx2 v[2:3], v27, s[6:7] offset:40
	global_load_dwordx2 v[12:13], v27, s[6:7] offset:24 glc
	global_load_dwordx2 v[14:15], v27, s[6:7]
	s_waitcnt vmcnt(3)
	v_mov_b32_e32 v9, s15
	s_waitcnt vmcnt(2)
	v_add_co_u32_e32 v11, vcc, 1, v2
	v_addc_co_u32_e32 v16, vcc, 0, v3, vcc
	v_add_co_u32_e32 v8, vcc, s14, v11
	v_addc_co_u32_e32 v9, vcc, v16, v9, vcc
	v_cmp_eq_u64_e32 vcc, 0, v[8:9]
	v_cndmask_b32_e32 v9, v9, v16, vcc
	v_cndmask_b32_e32 v8, v8, v11, vcc
	v_and_b32_e32 v3, v9, v3
	v_and_b32_e32 v2, v8, v2
	v_mul_lo_u32 v3, v3, 24
	v_mul_hi_u32 v11, v2, 24
	v_mul_lo_u32 v2, v2, 24
	v_add_u32_e32 v3, v11, v3
	s_waitcnt vmcnt(0)
	v_add_co_u32_e32 v2, vcc, v14, v2
	v_addc_co_u32_e32 v3, vcc, v15, v3, vcc
	v_mov_b32_e32 v10, v12
	global_store_dwordx2 v[2:3], v[12:13], off
	v_mov_b32_e32 v11, v13
	buffer_wbl2
	s_waitcnt vmcnt(0)
	global_atomic_cmpswap_x2 v[10:11], v27, v[8:11], s[6:7] offset:24 glc
	s_waitcnt vmcnt(0)
	v_cmp_ne_u64_e32 vcc, v[10:11], v[12:13]
	s_and_b64 exec, exec, vcc
	s_cbranch_execz .LBB2_153
; %bb.221:                              ;   in Loop: Header=BB2_154 Depth=1
	s_mov_b64 s[4:5], 0
.LBB2_222:                              ;   Parent Loop BB2_154 Depth=1
                                        ; =>  This Inner Loop Header: Depth=2
	s_sleep 1
	global_store_dwordx2 v[2:3], v[10:11], off
	buffer_wbl2
	s_waitcnt vmcnt(0)
	global_atomic_cmpswap_x2 v[12:13], v27, v[8:11], s[6:7] offset:24 glc
	s_waitcnt vmcnt(0)
	v_cmp_eq_u64_e32 vcc, v[12:13], v[10:11]
	s_or_b64 s[4:5], vcc, s[4:5]
	v_pk_mov_b32 v[10:11], v[12:13], v[12:13] op_sel:[0,1]
	s_andn2_b64 exec, exec, s[4:5]
	s_cbranch_execnz .LBB2_222
	s_branch .LBB2_153
.LBB2_223:                              ;   in Loop: Header=BB2_154 Depth=1
                                        ; implicit-def: $vgpr10_vgpr11
                                        ; implicit-def: $sgpr19
	s_branch .LBB2_166
.LBB2_224:                              ;   in Loop: Header=BB2_154 Depth=1
                                        ; implicit-def: $sgpr18
	s_branch .LBB2_172
.LBB2_225:                              ;   in Loop: Header=BB2_154 Depth=1
                                        ; implicit-def: $vgpr14_vgpr15
                                        ; implicit-def: $sgpr19
	s_branch .LBB2_178
.LBB2_226:                              ;   in Loop: Header=BB2_154 Depth=1
                                        ; implicit-def: $sgpr18
	s_branch .LBB2_184
.LBB2_227:                              ;   in Loop: Header=BB2_154 Depth=1
                                        ; implicit-def: $vgpr18_vgpr19
                                        ; implicit-def: $sgpr19
	s_branch .LBB2_190
.LBB2_228:                              ;   in Loop: Header=BB2_154 Depth=1
	s_branch .LBB2_196
.LBB2_229:                              ;   in Loop: Header=BB2_154 Depth=1
	v_pk_mov_b32 v[10:11], 0, 0
	s_mov_b32 s19, 0
	s_cbranch_execnz .LBB2_167
	s_branch .LBB2_166
.LBB2_230:                              ;   in Loop: Header=BB2_154 Depth=1
	v_pk_mov_b32 v[12:13], 0, 0
	s_mov_b32 s18, 0
	s_cbranch_execnz .LBB2_173
	s_branch .LBB2_172
.LBB2_231:                              ;   in Loop: Header=BB2_154 Depth=1
	v_pk_mov_b32 v[14:15], 0, 0
	s_mov_b32 s19, 0
	s_cbranch_execnz .LBB2_179
	s_branch .LBB2_178
.LBB2_232:                              ;   in Loop: Header=BB2_154 Depth=1
	v_pk_mov_b32 v[16:17], 0, 0
	s_mov_b32 s18, 0
	s_cbranch_execnz .LBB2_185
	s_branch .LBB2_184
.LBB2_233:                              ;   in Loop: Header=BB2_154 Depth=1
	v_pk_mov_b32 v[18:19], 0, 0
	s_mov_b32 s19, 0
	s_cbranch_execnz .LBB2_191
	s_branch .LBB2_190
.LBB2_234:                              ;   in Loop: Header=BB2_154 Depth=1
	v_pk_mov_b32 v[20:21], 0, 0
	s_cbranch_execnz .LBB2_197
	s_branch .LBB2_196
.LBB2_235:
	s_or_b64 exec, exec, s[44:45]
	s_mov_b64 s[4:5], 0
	s_mov_b64 s[8:9], -1
	s_mov_b64 s[6:7], 0
	s_and_saveexec_b64 s[10:11], s[30:31]
	s_xor_b64 s[10:11], exec, s[10:11]
; %bb.236:
	s_mov_b64 s[6:7], exec
	s_xor_b64 s[8:9], exec, -1
	s_and_b64 s[4:5], s[28:29], exec
; %bb.237:
	s_or_b64 exec, exec, s[10:11]
	s_and_b64 s[44:45], s[8:9], exec
	s_and_b64 s[28:29], s[6:7], exec
	s_orn2_b64 s[4:5], s[4:5], exec
	s_or_b64 exec, exec, s[26:27]
	s_mov_b64 s[46:47], s[36:37]
	s_and_saveexec_b64 s[26:27], s[4:5]
	s_cbranch_execz .LBB2_50
	s_branch .LBB2_49
.LBB2_238:
	s_andn2_saveexec_b64 s[6:7], s[6:7]
	s_cbranch_execz .LBB2_115
.LBB2_239:
	v_cmp_lt_i32_e32 vcc, 1, v55
                                        ; implicit-def: $vgpr43
	s_and_saveexec_b64 s[4:5], vcc
	s_xor_b64 s[4:5], exec, s[4:5]
	s_cbranch_execz .LBB2_241
; %bb.240:
	v_and_b32_e32 v0, 0xcccccccc, v1
	v_lshrrev_b32_e32 v2, 2, v0
	v_or_b32_e32 v43, v2, v0
	buffer_store_dword v43, off, s[0:3], s33 offset:100
.LBB2_241:
	s_or_saveexec_b64 s[10:11], s[4:5]
	s_mov_b64 s[4:5], 0
	s_mov_b64 s[12:13], s[8:9]
	s_xor_b64 exec, exec, s[10:11]
; %bb.242:
	v_cmp_ne_u32_e32 vcc, 1, v55
	s_andn2_b64 s[12:13], s[8:9], exec
	s_and_b64 s[14:15], vcc, exec
	s_mov_b64 s[4:5], exec
	s_or_b64 s[12:13], s[12:13], s[14:15]
                                        ; implicit-def: $vgpr43
; %bb.243:
	s_or_b64 exec, exec, s[10:11]
	s_andn2_b64 s[8:9], s[8:9], exec
	s_and_b64 s[10:11], s[12:13], exec
	s_and_b64 s[4:5], s[4:5], exec
	s_or_b64 s[8:9], s[8:9], s[10:11]
	s_or_b64 exec, exec, s[6:7]
	s_and_saveexec_b64 s[6:7], s[8:9]
	s_cbranch_execnz .LBB2_116
.LBB2_244:
	s_or_b64 exec, exec, s[6:7]
	s_and_saveexec_b64 s[6:7], s[4:5]
	s_cbranch_execz .LBB2_246
.LBB2_245:
	v_and_b32_e32 v0, 0xaaaaaaaa, v1
	v_lshrrev_b32_e32 v1, 1, v0
	v_or_b32_e32 v43, v1, v0
	buffer_store_dword v43, off, s[0:3], s33 offset:100
.LBB2_246:
	s_or_b64 exec, exec, s[6:7]
	s_mov_b64 s[50:51], src_private_base
	v_not_b32_e32 v0, v43
	v_lshrrev_b32_e64 v3, 6, s33
	v_and_b32_e32 v0, v56, v0
	s_mov_b64 s[8:9], s[34:35]
	v_mov_b32_e32 v1, v40
	v_mov_b32_e32 v2, v42
	v_add_u32_e32 v3, 48, v3
	v_mov_b32_e32 v4, s51
	v_mov_b32_e32 v5, v58
	;; [unrolled: 1-line block ×3, first 2 shown]
	s_getpc_b64 s[52:53]
	s_add_u32 s52, s52, _ZN3sop14minatoIsop5RecEjjiPNS_3SopEP7VecsMemIjLi8192EE@rel32@lo+4
	s_addc_u32 s53, s53, _ZN3sop14minatoIsop5RecEjjiPNS_3SopEP7VecsMemIjLi8192EE@rel32@hi+12
	s_swappc_b64 s[30:31], s[52:53]
	v_mov_b32_e32 v41, v0
	v_not_b32_e32 v0, v40
	v_lshrrev_b32_e64 v3, 6, s33
	v_and_b32_e32 v0, v45, v0
	s_mov_b64 s[8:9], s[34:35]
	v_mov_b32_e32 v1, v43
	v_mov_b32_e32 v2, v42
	v_add_u32_e32 v3, 64, v3
	v_mov_b32_e32 v4, s51
	v_mov_b32_e32 v5, v58
	v_mov_b32_e32 v6, v59
	s_swappc_b64 s[30:31], s[52:53]
	v_mov_b32_e32 v44, v0
	v_not_b32_e32 v0, v41
	v_and_b32_e32 v0, v56, v0
	v_not_b32_e32 v1, v44
	v_lshrrev_b32_e64 v3, 6, s33
	v_and_or_b32 v0, v45, v1, v0
	v_and_b32_e32 v1, v40, v43
	s_mov_b64 s[8:9], s[34:35]
	v_mov_b32_e32 v2, v42
	v_add_u32_e32 v3, 0x50, v3
	v_mov_b32_e32 v4, s51
	v_mov_b32_e32 v5, v58
	;; [unrolled: 1-line block ×3, first 2 shown]
	s_swappc_b64 s[30:31], s[52:53]
	v_mov_b32_e32 v54, v0
	buffer_load_dword v45, off, s[0:3], s33 offset:52
	buffer_load_dword v43, off, s[0:3], s33 offset:68
	;; [unrolled: 1-line block ×6, first 2 shown]
	s_mov_b64 s[4:5], -1
	v_pk_mov_b32 v[56:57], 0, 0
	s_mov_b64 s[50:51], s[46:47]
	s_waitcnt vmcnt(4)
	v_add_u32_e32 v1, v43, v45
	s_waitcnt vmcnt(3)
	v_add_u32_e32 v0, v1, v0
	;; [unrolled: 2-line block ×3, first 2 shown]
	s_waitcnt vmcnt(0)
	v_add3_u32 v0, v0, v2, v3
	v_cmp_lt_i32_e32 vcc, 0, v1
	flat_store_dwordx2 v[46:47], v[0:1]
	s_and_saveexec_b64 s[26:27], vcc
	s_cbranch_execz .LBB2_425
; %bb.247:
	flat_load_dword v0, v[58:59]
	s_movk_i32 s4, 0x2001
	s_mov_b64 s[28:29], 0
	v_pk_mov_b32 v[56:57], 0, 0
	s_waitcnt vmcnt(0) lgkmcnt(0)
	v_add_u32_e32 v2, v0, v1
	v_cmp_gt_i32_e32 vcc, s4, v2
	s_and_saveexec_b64 s[4:5], vcc
	s_xor_b64 s[4:5], exec, s[4:5]
	s_cbranch_execz .LBB2_249
; %bb.248:
	v_ashrrev_i32_e32 v3, 31, v2
	flat_store_dword v[58:59], v2
	v_lshlrev_b64 v[2:3], 2, v[2:3]
	v_add_co_u32_e32 v4, vcc, v58, v2
	v_addc_co_u32_e32 v5, vcc, v59, v3, vcc
	v_mov_b32_e32 v3, 0
	v_mov_b32_e32 v2, v1
	v_lshlrev_b64 v[0:1], 2, v[2:3]
	v_sub_co_u32_e32 v0, vcc, v4, v0
	v_subb_co_u32_e32 v1, vcc, v5, v1, vcc
	v_add_co_u32_e32 v56, vcc, 4, v0
	s_mov_b64 s[28:29], exec
	v_addc_co_u32_e32 v57, vcc, 0, v1, vcc
.LBB2_249:
	s_or_saveexec_b64 s[50:51], s[4:5]
	s_mov_b64 s[4:5], s[46:47]
	s_xor_b64 exec, exec, s[50:51]
	s_cbranch_execz .LBB2_424
; %bb.250:
	s_load_dwordx2 s[6:7], s[34:35], 0x50
	v_mbcnt_lo_u32_b32 v0, -1, 0
	v_mbcnt_hi_u32_b32 v31, -1, v0
	v_readfirstlane_b32 s4, v31
	v_cmp_eq_u32_e64 s[4:5], s4, v31
	v_pk_mov_b32 v[6:7], 0, 0
	s_and_saveexec_b64 s[8:9], s[4:5]
	s_cbranch_execz .LBB2_256
; %bb.251:
	v_mov_b32_e32 v0, 0
	s_waitcnt lgkmcnt(0)
	global_load_dwordx2 v[4:5], v0, s[6:7] offset:24 glc
	s_waitcnt vmcnt(0)
	buffer_invl2
	buffer_wbinvl1_vol
	global_load_dwordx2 v[2:3], v0, s[6:7] offset:40
	global_load_dwordx2 v[6:7], v0, s[6:7]
	s_waitcnt vmcnt(1)
	v_and_b32_e32 v1, v2, v4
	v_and_b32_e32 v2, v3, v5
	v_mul_lo_u32 v2, v2, 24
	v_mul_hi_u32 v3, v1, 24
	v_mul_lo_u32 v1, v1, 24
	v_add_u32_e32 v3, v3, v2
	s_waitcnt vmcnt(0)
	v_add_co_u32_e32 v2, vcc, v6, v1
	v_addc_co_u32_e32 v3, vcc, v7, v3, vcc
	global_load_dwordx2 v[2:3], v[2:3], off glc
	s_waitcnt vmcnt(0)
	global_atomic_cmpswap_x2 v[6:7], v0, v[2:5], s[6:7] offset:24 glc
	s_waitcnt vmcnt(0)
	buffer_invl2
	buffer_wbinvl1_vol
	v_cmp_ne_u64_e32 vcc, v[6:7], v[4:5]
	s_and_saveexec_b64 s[10:11], vcc
	s_cbranch_execz .LBB2_255
; %bb.252:
	s_mov_b64 s[12:13], 0
.LBB2_253:                              ; =>This Inner Loop Header: Depth=1
	s_sleep 1
	global_load_dwordx2 v[2:3], v0, s[6:7] offset:40
	global_load_dwordx2 v[8:9], v0, s[6:7]
	v_pk_mov_b32 v[4:5], v[6:7], v[6:7] op_sel:[0,1]
	s_waitcnt vmcnt(1)
	v_and_b32_e32 v2, v2, v4
	v_and_b32_e32 v1, v3, v5
	s_waitcnt vmcnt(0)
	v_mad_u64_u32 v[2:3], s[14:15], v2, 24, v[8:9]
	v_mov_b32_e32 v6, v3
	v_mad_u64_u32 v[6:7], s[14:15], v1, 24, v[6:7]
	v_mov_b32_e32 v3, v6
	global_load_dwordx2 v[2:3], v[2:3], off glc
	s_waitcnt vmcnt(0)
	global_atomic_cmpswap_x2 v[6:7], v0, v[2:5], s[6:7] offset:24 glc
	s_waitcnt vmcnt(0)
	buffer_invl2
	buffer_wbinvl1_vol
	v_cmp_eq_u64_e32 vcc, v[6:7], v[4:5]
	s_or_b64 s[12:13], vcc, s[12:13]
	s_andn2_b64 exec, exec, s[12:13]
	s_cbranch_execnz .LBB2_253
; %bb.254:
	s_or_b64 exec, exec, s[12:13]
.LBB2_255:
	s_or_b64 exec, exec, s[10:11]
.LBB2_256:
	s_or_b64 exec, exec, s[8:9]
	v_mov_b32_e32 v5, 0
	s_waitcnt lgkmcnt(0)
	global_load_dwordx2 v[8:9], v5, s[6:7] offset:40
	global_load_dwordx4 v[0:3], v5, s[6:7]
	v_readfirstlane_b32 s8, v6
	v_readfirstlane_b32 s9, v7
	s_mov_b64 s[10:11], exec
	s_waitcnt vmcnt(0)
	v_readfirstlane_b32 s12, v8
	v_readfirstlane_b32 s13, v9
	s_and_b64 s[12:13], s[8:9], s[12:13]
	s_mul_i32 s14, s13, 24
	s_mul_hi_u32 s15, s12, 24
	s_mul_i32 s16, s12, 24
	s_add_i32 s14, s15, s14
	v_mov_b32_e32 v4, s14
	v_add_co_u32_e32 v8, vcc, s16, v0
	v_addc_co_u32_e32 v9, vcc, v1, v4, vcc
	s_and_saveexec_b64 s[14:15], s[4:5]
	s_cbranch_execz .LBB2_258
; %bb.257:
	v_pk_mov_b32 v[10:11], s[10:11], s[10:11] op_sel:[0,1]
	v_mov_b32_e32 v12, 2
	v_mov_b32_e32 v13, 1
	global_store_dwordx4 v[8:9], v[10:13], off offset:8
.LBB2_258:
	s_or_b64 exec, exec, s[14:15]
	s_lshl_b64 s[10:11], s[12:13], 12
	v_mov_b32_e32 v4, s11
	v_add_co_u32_e32 v2, vcc, s10, v2
	v_addc_co_u32_e32 v3, vcc, v3, v4, vcc
	s_mov_b32 s12, 0
	v_lshlrev_b32_e32 v30, 6, v31
	v_add_co_u32_e32 v10, vcc, v2, v30
	v_mov_b32_e32 v4, 33
	v_mov_b32_e32 v6, v5
	;; [unrolled: 1-line block ×3, first 2 shown]
	v_readfirstlane_b32 s10, v2
	v_readfirstlane_b32 s11, v3
	s_mov_b32 s13, s12
	v_addc_co_u32_e32 v11, vcc, 0, v3, vcc
	s_mov_b32 s14, s12
	s_mov_b32 s15, s12
	s_nop 0
	global_store_dwordx4 v30, v[4:7], s[10:11]
	v_pk_mov_b32 v[2:3], s[12:13], s[12:13] op_sel:[0,1]
	v_pk_mov_b32 v[4:5], s[14:15], s[14:15] op_sel:[0,1]
	global_store_dwordx4 v30, v[2:5], s[10:11] offset:16
	global_store_dwordx4 v30, v[2:5], s[10:11] offset:32
	;; [unrolled: 1-line block ×3, first 2 shown]
	s_and_saveexec_b64 s[10:11], s[4:5]
	s_cbranch_execz .LBB2_266
; %bb.259:
	v_mov_b32_e32 v6, 0
	global_load_dwordx2 v[14:15], v6, s[6:7] offset:32 glc
	global_load_dwordx2 v[2:3], v6, s[6:7] offset:40
	v_mov_b32_e32 v12, s8
	v_mov_b32_e32 v13, s9
	s_waitcnt vmcnt(0)
	v_and_b32_e32 v2, s8, v2
	v_and_b32_e32 v3, s9, v3
	v_mul_lo_u32 v3, v3, 24
	v_mul_hi_u32 v4, v2, 24
	v_mul_lo_u32 v2, v2, 24
	v_add_u32_e32 v3, v4, v3
	v_add_co_u32_e32 v4, vcc, v0, v2
	v_addc_co_u32_e32 v5, vcc, v1, v3, vcc
	global_store_dwordx2 v[4:5], v[14:15], off
	buffer_wbl2
	s_waitcnt vmcnt(0)
	global_atomic_cmpswap_x2 v[2:3], v6, v[12:15], s[6:7] offset:32 glc
	s_waitcnt vmcnt(0)
	v_cmp_ne_u64_e32 vcc, v[2:3], v[14:15]
	s_and_saveexec_b64 s[12:13], vcc
	s_cbranch_execz .LBB2_262
; %bb.260:
	s_mov_b64 s[14:15], 0
.LBB2_261:                              ; =>This Inner Loop Header: Depth=1
	s_sleep 1
	global_store_dwordx2 v[4:5], v[2:3], off
	v_mov_b32_e32 v0, s8
	v_mov_b32_e32 v1, s9
	buffer_wbl2
	s_waitcnt vmcnt(0)
	global_atomic_cmpswap_x2 v[0:1], v6, v[0:3], s[6:7] offset:32 glc
	s_waitcnt vmcnt(0)
	v_cmp_eq_u64_e32 vcc, v[0:1], v[2:3]
	s_or_b64 s[14:15], vcc, s[14:15]
	v_pk_mov_b32 v[2:3], v[0:1], v[0:1] op_sel:[0,1]
	s_andn2_b64 exec, exec, s[14:15]
	s_cbranch_execnz .LBB2_261
.LBB2_262:
	s_or_b64 exec, exec, s[12:13]
	v_mov_b32_e32 v3, 0
	global_load_dwordx2 v[0:1], v3, s[6:7] offset:16
	s_mov_b64 s[12:13], exec
	v_mbcnt_lo_u32_b32 v2, s12, 0
	v_mbcnt_hi_u32_b32 v2, s13, v2
	v_cmp_eq_u32_e32 vcc, 0, v2
	s_and_saveexec_b64 s[14:15], vcc
	s_cbranch_execz .LBB2_264
; %bb.263:
	s_bcnt1_i32_b64 s12, s[12:13]
	v_mov_b32_e32 v2, s12
	buffer_wbl2
	s_waitcnt vmcnt(0)
	global_atomic_add_x2 v[0:1], v[2:3], off offset:8
.LBB2_264:
	s_or_b64 exec, exec, s[14:15]
	s_waitcnt vmcnt(0)
	global_load_dwordx2 v[2:3], v[0:1], off offset:16
	s_waitcnt vmcnt(0)
	v_cmp_eq_u64_e32 vcc, 0, v[2:3]
	s_cbranch_vccnz .LBB2_266
; %bb.265:
	global_load_dword v0, v[0:1], off offset:24
	v_mov_b32_e32 v1, 0
	buffer_wbl2
	s_waitcnt vmcnt(0)
	global_store_dwordx2 v[2:3], v[0:1], off
	v_and_b32_e32 v0, 0xffffff, v0
	v_readfirstlane_b32 m0, v0
	s_sendmsg sendmsg(MSG_INTERRUPT)
.LBB2_266:
	s_or_b64 exec, exec, s[10:11]
	s_branch .LBB2_268
.LBB2_267:
	s_branch .LBB2_272
.LBB2_268:                              ; =>This Inner Loop Header: Depth=1
	v_mov_b32_e32 v0, 1
	s_and_saveexec_b64 s[10:11], s[4:5]
	s_cbranch_execz .LBB2_270
; %bb.269:                              ;   in Loop: Header=BB2_268 Depth=1
	global_load_dword v0, v[8:9], off offset:20 glc
	s_waitcnt vmcnt(0)
	buffer_invl2
	buffer_wbinvl1_vol
	v_and_b32_e32 v0, 1, v0
.LBB2_270:                              ;   in Loop: Header=BB2_268 Depth=1
	s_or_b64 exec, exec, s[10:11]
	v_readfirstlane_b32 s10, v0
	s_cmp_eq_u32 s10, 0
	s_cbranch_scc1 .LBB2_267
; %bb.271:                              ;   in Loop: Header=BB2_268 Depth=1
	s_sleep 1
	s_cbranch_execnz .LBB2_268
.LBB2_272:
	global_load_dwordx2 v[0:1], v[10:11], off
	s_and_saveexec_b64 s[10:11], s[4:5]
	s_cbranch_execz .LBB2_275
; %bb.273:
	v_mov_b32_e32 v8, 0
	global_load_dwordx2 v[6:7], v8, s[6:7] offset:40
	global_load_dwordx2 v[10:11], v8, s[6:7] offset:24 glc
	global_load_dwordx2 v[12:13], v8, s[6:7]
	v_mov_b32_e32 v3, s9
	s_mov_b64 s[4:5], 0
	s_waitcnt vmcnt(2)
	v_add_co_u32_e32 v5, vcc, 1, v6
	v_addc_co_u32_e32 v9, vcc, 0, v7, vcc
	v_add_co_u32_e32 v2, vcc, s8, v5
	v_addc_co_u32_e32 v3, vcc, v9, v3, vcc
	v_cmp_eq_u64_e32 vcc, 0, v[2:3]
	v_cndmask_b32_e32 v3, v3, v9, vcc
	v_cndmask_b32_e32 v2, v2, v5, vcc
	v_and_b32_e32 v5, v3, v7
	v_and_b32_e32 v6, v2, v6
	v_mul_lo_u32 v5, v5, 24
	v_mul_hi_u32 v7, v6, 24
	v_mul_lo_u32 v6, v6, 24
	v_add_u32_e32 v5, v7, v5
	s_waitcnt vmcnt(0)
	v_add_co_u32_e32 v6, vcc, v12, v6
	v_addc_co_u32_e32 v7, vcc, v13, v5, vcc
	v_mov_b32_e32 v4, v10
	global_store_dwordx2 v[6:7], v[10:11], off
	v_mov_b32_e32 v5, v11
	buffer_wbl2
	s_waitcnt vmcnt(0)
	global_atomic_cmpswap_x2 v[4:5], v8, v[2:5], s[6:7] offset:24 glc
	s_waitcnt vmcnt(0)
	v_cmp_ne_u64_e32 vcc, v[4:5], v[10:11]
	s_and_b64 exec, exec, vcc
	s_cbranch_execz .LBB2_275
.LBB2_274:                              ; =>This Inner Loop Header: Depth=1
	s_sleep 1
	global_store_dwordx2 v[6:7], v[4:5], off
	buffer_wbl2
	s_waitcnt vmcnt(0)
	global_atomic_cmpswap_x2 v[10:11], v8, v[2:5], s[6:7] offset:24 glc
	s_waitcnt vmcnt(0)
	v_cmp_eq_u64_e32 vcc, v[10:11], v[4:5]
	s_or_b64 s[4:5], vcc, s[4:5]
	v_pk_mov_b32 v[4:5], v[10:11], v[10:11] op_sel:[0,1]
	s_andn2_b64 exec, exec, s[4:5]
	s_cbranch_execnz .LBB2_274
.LBB2_275:
	s_or_b64 exec, exec, s[10:11]
	s_getpc_b64 s[8:9]
	s_add_u32 s8, s8, .str.28@rel32@lo+4
	s_addc_u32 s9, s9, .str.28@rel32@hi+12
	s_cmp_lg_u64 s[8:9], 0
	s_cbranch_scc0 .LBB2_395
; %bb.276:
	s_waitcnt vmcnt(0)
	v_and_b32_e32 v6, -3, v0
	v_mov_b32_e32 v7, v1
	s_mov_b64 s[10:11], 35
	v_mov_b32_e32 v27, 0
	v_mov_b32_e32 v4, 2
	;; [unrolled: 1-line block ×3, first 2 shown]
	s_branch .LBB2_278
.LBB2_277:                              ;   in Loop: Header=BB2_278 Depth=1
	s_or_b64 exec, exec, s[16:17]
	s_sub_u32 s10, s10, s12
	s_subb_u32 s11, s11, s13
	s_add_u32 s8, s8, s12
	s_addc_u32 s9, s9, s13
	s_cmp_lg_u64 s[10:11], 0
	s_cbranch_scc0 .LBB2_394
.LBB2_278:                              ; =>This Loop Header: Depth=1
                                        ;     Child Loop BB2_281 Depth 2
                                        ;     Child Loop BB2_288 Depth 2
	;; [unrolled: 1-line block ×11, first 2 shown]
	v_cmp_lt_u64_e64 s[4:5], s[10:11], 56
	s_and_b64 s[4:5], s[4:5], exec
	v_cmp_gt_u64_e64 s[4:5], s[10:11], 7
	s_cselect_b32 s13, s11, 0
	s_cselect_b32 s12, s10, 56
	s_and_b64 vcc, exec, s[4:5]
	s_cbranch_vccnz .LBB2_283
; %bb.279:                              ;   in Loop: Header=BB2_278 Depth=1
	s_mov_b64 s[4:5], 0
	s_cmp_eq_u64 s[10:11], 0
	s_waitcnt vmcnt(0)
	v_pk_mov_b32 v[8:9], 0, 0
	s_cbranch_scc1 .LBB2_282
; %bb.280:                              ;   in Loop: Header=BB2_278 Depth=1
	s_lshl_b64 s[14:15], s[12:13], 3
	s_mov_b64 s[16:17], 0
	v_pk_mov_b32 v[8:9], 0, 0
	s_mov_b64 s[18:19], s[8:9]
.LBB2_281:                              ;   Parent Loop BB2_278 Depth=1
                                        ; =>  This Inner Loop Header: Depth=2
	global_load_ubyte v2, v27, s[18:19]
	s_waitcnt vmcnt(0)
	v_and_b32_e32 v26, 0xffff, v2
	v_lshlrev_b64 v[2:3], s16, v[26:27]
	s_add_u32 s16, s16, 8
	s_addc_u32 s17, s17, 0
	s_add_u32 s18, s18, 1
	s_addc_u32 s19, s19, 0
	v_or_b32_e32 v8, v2, v8
	s_cmp_lg_u32 s14, s16
	v_or_b32_e32 v9, v3, v9
	s_cbranch_scc1 .LBB2_281
.LBB2_282:                              ;   in Loop: Header=BB2_278 Depth=1
	s_mov_b32 s18, 0
	s_andn2_b64 vcc, exec, s[4:5]
	s_mov_b64 s[4:5], s[8:9]
	s_cbranch_vccz .LBB2_284
	s_branch .LBB2_285
.LBB2_283:                              ;   in Loop: Header=BB2_278 Depth=1
                                        ; implicit-def: $sgpr18
	s_mov_b64 s[4:5], s[8:9]
.LBB2_284:                              ;   in Loop: Header=BB2_278 Depth=1
	global_load_dwordx2 v[8:9], v27, s[8:9]
	s_add_i32 s18, s12, -8
	s_add_u32 s4, s8, 8
	s_addc_u32 s5, s9, 0
.LBB2_285:                              ;   in Loop: Header=BB2_278 Depth=1
	s_cmp_gt_u32 s18, 7
	s_cbranch_scc1 .LBB2_347
; %bb.286:                              ;   in Loop: Header=BB2_278 Depth=1
	s_cmp_eq_u32 s18, 0
	s_cbranch_scc1 .LBB2_353
; %bb.287:                              ;   in Loop: Header=BB2_278 Depth=1
	s_mov_b64 s[14:15], 0
	v_pk_mov_b32 v[10:11], 0, 0
	s_mov_b64 s[16:17], 0
.LBB2_288:                              ;   Parent Loop BB2_278 Depth=1
                                        ; =>  This Inner Loop Header: Depth=2
	s_add_u32 s20, s4, s16
	s_addc_u32 s21, s5, s17
	global_load_ubyte v2, v27, s[20:21]
	s_add_u32 s16, s16, 1
	s_addc_u32 s17, s17, 0
	s_waitcnt vmcnt(0)
	v_and_b32_e32 v26, 0xffff, v2
	v_lshlrev_b64 v[2:3], s14, v[26:27]
	s_add_u32 s14, s14, 8
	s_addc_u32 s15, s15, 0
	v_or_b32_e32 v10, v2, v10
	s_cmp_lg_u32 s18, s16
	v_or_b32_e32 v11, v3, v11
	s_cbranch_scc1 .LBB2_288
; %bb.289:                              ;   in Loop: Header=BB2_278 Depth=1
	s_mov_b32 s19, 0
	s_cbranch_execnz .LBB2_291
.LBB2_290:                              ;   in Loop: Header=BB2_278 Depth=1
	global_load_dwordx2 v[10:11], v27, s[4:5]
	s_add_i32 s19, s18, -8
	s_add_u32 s4, s4, 8
	s_addc_u32 s5, s5, 0
.LBB2_291:                              ;   in Loop: Header=BB2_278 Depth=1
	s_cmp_gt_u32 s19, 7
	s_cbranch_scc1 .LBB2_348
; %bb.292:                              ;   in Loop: Header=BB2_278 Depth=1
	s_cmp_eq_u32 s19, 0
	s_cbranch_scc1 .LBB2_354
; %bb.293:                              ;   in Loop: Header=BB2_278 Depth=1
	s_mov_b64 s[14:15], 0
	v_pk_mov_b32 v[12:13], 0, 0
	s_mov_b64 s[16:17], 0
.LBB2_294:                              ;   Parent Loop BB2_278 Depth=1
                                        ; =>  This Inner Loop Header: Depth=2
	s_add_u32 s20, s4, s16
	s_addc_u32 s21, s5, s17
	global_load_ubyte v2, v27, s[20:21]
	s_add_u32 s16, s16, 1
	s_addc_u32 s17, s17, 0
	s_waitcnt vmcnt(0)
	v_and_b32_e32 v26, 0xffff, v2
	v_lshlrev_b64 v[2:3], s14, v[26:27]
	s_add_u32 s14, s14, 8
	s_addc_u32 s15, s15, 0
	v_or_b32_e32 v12, v2, v12
	s_cmp_lg_u32 s19, s16
	v_or_b32_e32 v13, v3, v13
	s_cbranch_scc1 .LBB2_294
; %bb.295:                              ;   in Loop: Header=BB2_278 Depth=1
	s_mov_b32 s18, 0
	s_cbranch_execnz .LBB2_297
.LBB2_296:                              ;   in Loop: Header=BB2_278 Depth=1
	global_load_dwordx2 v[12:13], v27, s[4:5]
	s_add_i32 s18, s19, -8
	s_add_u32 s4, s4, 8
	s_addc_u32 s5, s5, 0
.LBB2_297:                              ;   in Loop: Header=BB2_278 Depth=1
	s_cmp_gt_u32 s18, 7
	s_cbranch_scc1 .LBB2_349
; %bb.298:                              ;   in Loop: Header=BB2_278 Depth=1
	s_cmp_eq_u32 s18, 0
	s_cbranch_scc1 .LBB2_355
; %bb.299:                              ;   in Loop: Header=BB2_278 Depth=1
	s_mov_b64 s[14:15], 0
	v_pk_mov_b32 v[14:15], 0, 0
	s_mov_b64 s[16:17], 0
.LBB2_300:                              ;   Parent Loop BB2_278 Depth=1
                                        ; =>  This Inner Loop Header: Depth=2
	s_add_u32 s20, s4, s16
	s_addc_u32 s21, s5, s17
	global_load_ubyte v2, v27, s[20:21]
	s_add_u32 s16, s16, 1
	s_addc_u32 s17, s17, 0
	s_waitcnt vmcnt(0)
	v_and_b32_e32 v26, 0xffff, v2
	v_lshlrev_b64 v[2:3], s14, v[26:27]
	s_add_u32 s14, s14, 8
	s_addc_u32 s15, s15, 0
	v_or_b32_e32 v14, v2, v14
	s_cmp_lg_u32 s18, s16
	v_or_b32_e32 v15, v3, v15
	s_cbranch_scc1 .LBB2_300
; %bb.301:                              ;   in Loop: Header=BB2_278 Depth=1
	s_mov_b32 s19, 0
	s_cbranch_execnz .LBB2_303
.LBB2_302:                              ;   in Loop: Header=BB2_278 Depth=1
	global_load_dwordx2 v[14:15], v27, s[4:5]
	s_add_i32 s19, s18, -8
	s_add_u32 s4, s4, 8
	s_addc_u32 s5, s5, 0
.LBB2_303:                              ;   in Loop: Header=BB2_278 Depth=1
	s_cmp_gt_u32 s19, 7
	s_cbranch_scc1 .LBB2_350
; %bb.304:                              ;   in Loop: Header=BB2_278 Depth=1
	s_cmp_eq_u32 s19, 0
	s_cbranch_scc1 .LBB2_356
; %bb.305:                              ;   in Loop: Header=BB2_278 Depth=1
	s_mov_b64 s[14:15], 0
	v_pk_mov_b32 v[16:17], 0, 0
	s_mov_b64 s[16:17], 0
.LBB2_306:                              ;   Parent Loop BB2_278 Depth=1
                                        ; =>  This Inner Loop Header: Depth=2
	s_add_u32 s20, s4, s16
	s_addc_u32 s21, s5, s17
	global_load_ubyte v2, v27, s[20:21]
	s_add_u32 s16, s16, 1
	s_addc_u32 s17, s17, 0
	s_waitcnt vmcnt(0)
	v_and_b32_e32 v26, 0xffff, v2
	v_lshlrev_b64 v[2:3], s14, v[26:27]
	s_add_u32 s14, s14, 8
	s_addc_u32 s15, s15, 0
	v_or_b32_e32 v16, v2, v16
	s_cmp_lg_u32 s19, s16
	v_or_b32_e32 v17, v3, v17
	s_cbranch_scc1 .LBB2_306
; %bb.307:                              ;   in Loop: Header=BB2_278 Depth=1
	s_mov_b32 s18, 0
	s_cbranch_execnz .LBB2_309
.LBB2_308:                              ;   in Loop: Header=BB2_278 Depth=1
	global_load_dwordx2 v[16:17], v27, s[4:5]
	s_add_i32 s18, s19, -8
	s_add_u32 s4, s4, 8
	s_addc_u32 s5, s5, 0
.LBB2_309:                              ;   in Loop: Header=BB2_278 Depth=1
	s_cmp_gt_u32 s18, 7
	s_cbranch_scc1 .LBB2_351
; %bb.310:                              ;   in Loop: Header=BB2_278 Depth=1
	s_cmp_eq_u32 s18, 0
	s_cbranch_scc1 .LBB2_357
; %bb.311:                              ;   in Loop: Header=BB2_278 Depth=1
	s_mov_b64 s[14:15], 0
	v_pk_mov_b32 v[18:19], 0, 0
	s_mov_b64 s[16:17], 0
.LBB2_312:                              ;   Parent Loop BB2_278 Depth=1
                                        ; =>  This Inner Loop Header: Depth=2
	s_add_u32 s20, s4, s16
	s_addc_u32 s21, s5, s17
	global_load_ubyte v2, v27, s[20:21]
	s_add_u32 s16, s16, 1
	s_addc_u32 s17, s17, 0
	s_waitcnt vmcnt(0)
	v_and_b32_e32 v26, 0xffff, v2
	v_lshlrev_b64 v[2:3], s14, v[26:27]
	s_add_u32 s14, s14, 8
	s_addc_u32 s15, s15, 0
	v_or_b32_e32 v18, v2, v18
	s_cmp_lg_u32 s18, s16
	v_or_b32_e32 v19, v3, v19
	s_cbranch_scc1 .LBB2_312
; %bb.313:                              ;   in Loop: Header=BB2_278 Depth=1
	s_mov_b32 s19, 0
	s_cbranch_execnz .LBB2_315
.LBB2_314:                              ;   in Loop: Header=BB2_278 Depth=1
	global_load_dwordx2 v[18:19], v27, s[4:5]
	s_add_i32 s19, s18, -8
	s_add_u32 s4, s4, 8
	s_addc_u32 s5, s5, 0
.LBB2_315:                              ;   in Loop: Header=BB2_278 Depth=1
	s_cmp_gt_u32 s19, 7
	s_cbranch_scc1 .LBB2_352
; %bb.316:                              ;   in Loop: Header=BB2_278 Depth=1
	s_cmp_eq_u32 s19, 0
	s_cbranch_scc1 .LBB2_358
; %bb.317:                              ;   in Loop: Header=BB2_278 Depth=1
	s_mov_b64 s[14:15], 0
	v_pk_mov_b32 v[20:21], 0, 0
	s_mov_b64 s[16:17], s[4:5]
.LBB2_318:                              ;   Parent Loop BB2_278 Depth=1
                                        ; =>  This Inner Loop Header: Depth=2
	global_load_ubyte v2, v27, s[16:17]
	s_add_i32 s19, s19, -1
	s_waitcnt vmcnt(0)
	v_and_b32_e32 v26, 0xffff, v2
	v_lshlrev_b64 v[2:3], s14, v[26:27]
	s_add_u32 s14, s14, 8
	s_addc_u32 s15, s15, 0
	s_add_u32 s16, s16, 1
	s_addc_u32 s17, s17, 0
	v_or_b32_e32 v20, v2, v20
	s_cmp_lg_u32 s19, 0
	v_or_b32_e32 v21, v3, v21
	s_cbranch_scc1 .LBB2_318
; %bb.319:                              ;   in Loop: Header=BB2_278 Depth=1
	s_cbranch_execnz .LBB2_321
.LBB2_320:                              ;   in Loop: Header=BB2_278 Depth=1
	global_load_dwordx2 v[20:21], v27, s[4:5]
.LBB2_321:                              ;   in Loop: Header=BB2_278 Depth=1
	v_readfirstlane_b32 s4, v31
	v_cmp_eq_u32_e64 s[4:5], s4, v31
	v_pk_mov_b32 v[2:3], 0, 0
	s_and_saveexec_b64 s[14:15], s[4:5]
	s_cbranch_execz .LBB2_327
; %bb.322:                              ;   in Loop: Header=BB2_278 Depth=1
	global_load_dwordx2 v[24:25], v27, s[6:7] offset:24 glc
	s_waitcnt vmcnt(0)
	buffer_invl2
	buffer_wbinvl1_vol
	global_load_dwordx2 v[2:3], v27, s[6:7] offset:40
	global_load_dwordx2 v[22:23], v27, s[6:7]
	s_waitcnt vmcnt(1)
	v_and_b32_e32 v2, v2, v24
	v_and_b32_e32 v3, v3, v25
	v_mul_lo_u32 v3, v3, 24
	v_mul_hi_u32 v26, v2, 24
	v_mul_lo_u32 v2, v2, 24
	v_add_u32_e32 v3, v26, v3
	s_waitcnt vmcnt(0)
	v_add_co_u32_e32 v2, vcc, v22, v2
	v_addc_co_u32_e32 v3, vcc, v23, v3, vcc
	global_load_dwordx2 v[22:23], v[2:3], off glc
	s_waitcnt vmcnt(0)
	global_atomic_cmpswap_x2 v[2:3], v27, v[22:25], s[6:7] offset:24 glc
	s_waitcnt vmcnt(0)
	buffer_invl2
	buffer_wbinvl1_vol
	v_cmp_ne_u64_e32 vcc, v[2:3], v[24:25]
	s_and_saveexec_b64 s[16:17], vcc
	s_cbranch_execz .LBB2_326
; %bb.323:                              ;   in Loop: Header=BB2_278 Depth=1
	s_mov_b64 s[18:19], 0
.LBB2_324:                              ;   Parent Loop BB2_278 Depth=1
                                        ; =>  This Inner Loop Header: Depth=2
	s_sleep 1
	global_load_dwordx2 v[22:23], v27, s[6:7] offset:40
	global_load_dwordx2 v[28:29], v27, s[6:7]
	v_pk_mov_b32 v[24:25], v[2:3], v[2:3] op_sel:[0,1]
	s_waitcnt vmcnt(1)
	v_and_b32_e32 v2, v22, v24
	s_waitcnt vmcnt(0)
	v_mad_u64_u32 v[2:3], s[20:21], v2, 24, v[28:29]
	v_and_b32_e32 v23, v23, v25
	v_mov_b32_e32 v22, v3
	v_mad_u64_u32 v[22:23], s[20:21], v23, 24, v[22:23]
	v_mov_b32_e32 v3, v22
	global_load_dwordx2 v[22:23], v[2:3], off glc
	s_waitcnt vmcnt(0)
	global_atomic_cmpswap_x2 v[2:3], v27, v[22:25], s[6:7] offset:24 glc
	s_waitcnt vmcnt(0)
	buffer_invl2
	buffer_wbinvl1_vol
	v_cmp_eq_u64_e32 vcc, v[2:3], v[24:25]
	s_or_b64 s[18:19], vcc, s[18:19]
	s_andn2_b64 exec, exec, s[18:19]
	s_cbranch_execnz .LBB2_324
; %bb.325:                              ;   in Loop: Header=BB2_278 Depth=1
	s_or_b64 exec, exec, s[18:19]
.LBB2_326:                              ;   in Loop: Header=BB2_278 Depth=1
	s_or_b64 exec, exec, s[16:17]
.LBB2_327:                              ;   in Loop: Header=BB2_278 Depth=1
	s_or_b64 exec, exec, s[14:15]
	global_load_dwordx2 v[28:29], v27, s[6:7] offset:40
	global_load_dwordx4 v[22:25], v27, s[6:7]
	v_readfirstlane_b32 s14, v2
	v_readfirstlane_b32 s15, v3
	s_mov_b64 s[16:17], exec
	s_waitcnt vmcnt(1)
	v_readfirstlane_b32 s18, v28
	v_readfirstlane_b32 s19, v29
	s_and_b64 s[18:19], s[14:15], s[18:19]
	s_mul_i32 s20, s19, 24
	s_mul_hi_u32 s21, s18, 24
	s_mul_i32 s22, s18, 24
	s_add_i32 s20, s21, s20
	v_mov_b32_e32 v2, s20
	s_waitcnt vmcnt(0)
	v_add_co_u32_e32 v28, vcc, s22, v22
	v_addc_co_u32_e32 v29, vcc, v23, v2, vcc
	s_and_saveexec_b64 s[20:21], s[4:5]
	s_cbranch_execz .LBB2_329
; %bb.328:                              ;   in Loop: Header=BB2_278 Depth=1
	v_pk_mov_b32 v[2:3], s[16:17], s[16:17] op_sel:[0,1]
	global_store_dwordx4 v[28:29], v[2:5], off offset:8
.LBB2_329:                              ;   in Loop: Header=BB2_278 Depth=1
	s_or_b64 exec, exec, s[20:21]
	s_lshl_b64 s[16:17], s[18:19], 12
	v_mov_b32_e32 v3, s17
	v_add_co_u32_e32 v2, vcc, s16, v24
	v_addc_co_u32_e32 v3, vcc, v25, v3, vcc
	v_or_b32_e32 v24, 2, v6
	v_cmp_gt_u64_e64 vcc, s[10:11], 56
	s_lshl_b32 s16, s12, 2
	v_cndmask_b32_e32 v6, v24, v6, vcc
	s_add_i32 s16, s16, 28
	s_and_b32 s16, s16, 0x1e0
	v_and_b32_e32 v6, 0xffffff1f, v6
	v_or_b32_e32 v6, s16, v6
	v_readfirstlane_b32 s16, v2
	v_readfirstlane_b32 s17, v3
	s_nop 4
	global_store_dwordx4 v30, v[6:9], s[16:17]
	global_store_dwordx4 v30, v[10:13], s[16:17] offset:16
	global_store_dwordx4 v30, v[14:17], s[16:17] offset:32
	;; [unrolled: 1-line block ×3, first 2 shown]
	s_and_saveexec_b64 s[16:17], s[4:5]
	s_cbranch_execz .LBB2_337
; %bb.330:                              ;   in Loop: Header=BB2_278 Depth=1
	global_load_dwordx2 v[14:15], v27, s[6:7] offset:32 glc
	global_load_dwordx2 v[6:7], v27, s[6:7] offset:40
	v_mov_b32_e32 v12, s14
	v_mov_b32_e32 v13, s15
	s_waitcnt vmcnt(0)
	v_readfirstlane_b32 s18, v6
	v_readfirstlane_b32 s19, v7
	s_and_b64 s[18:19], s[18:19], s[14:15]
	s_mul_i32 s19, s19, 24
	s_mul_hi_u32 s20, s18, 24
	s_mul_i32 s18, s18, 24
	s_add_i32 s19, s20, s19
	v_mov_b32_e32 v6, s19
	v_add_co_u32_e32 v10, vcc, s18, v22
	v_addc_co_u32_e32 v11, vcc, v23, v6, vcc
	global_store_dwordx2 v[10:11], v[14:15], off
	buffer_wbl2
	s_waitcnt vmcnt(0)
	global_atomic_cmpswap_x2 v[8:9], v27, v[12:15], s[6:7] offset:32 glc
	s_waitcnt vmcnt(0)
	v_cmp_ne_u64_e32 vcc, v[8:9], v[14:15]
	s_and_saveexec_b64 s[18:19], vcc
	s_cbranch_execz .LBB2_333
; %bb.331:                              ;   in Loop: Header=BB2_278 Depth=1
	s_mov_b64 s[20:21], 0
.LBB2_332:                              ;   Parent Loop BB2_278 Depth=1
                                        ; =>  This Inner Loop Header: Depth=2
	s_sleep 1
	global_store_dwordx2 v[10:11], v[8:9], off
	v_mov_b32_e32 v6, s14
	v_mov_b32_e32 v7, s15
	buffer_wbl2
	s_waitcnt vmcnt(0)
	global_atomic_cmpswap_x2 v[6:7], v27, v[6:9], s[6:7] offset:32 glc
	s_waitcnt vmcnt(0)
	v_cmp_eq_u64_e32 vcc, v[6:7], v[8:9]
	s_or_b64 s[20:21], vcc, s[20:21]
	v_pk_mov_b32 v[8:9], v[6:7], v[6:7] op_sel:[0,1]
	s_andn2_b64 exec, exec, s[20:21]
	s_cbranch_execnz .LBB2_332
.LBB2_333:                              ;   in Loop: Header=BB2_278 Depth=1
	s_or_b64 exec, exec, s[18:19]
	global_load_dwordx2 v[6:7], v27, s[6:7] offset:16
	s_mov_b64 s[20:21], exec
	v_mbcnt_lo_u32_b32 v8, s20, 0
	v_mbcnt_hi_u32_b32 v8, s21, v8
	v_cmp_eq_u32_e32 vcc, 0, v8
	s_and_saveexec_b64 s[18:19], vcc
	s_cbranch_execz .LBB2_335
; %bb.334:                              ;   in Loop: Header=BB2_278 Depth=1
	s_bcnt1_i32_b64 s20, s[20:21]
	v_mov_b32_e32 v26, s20
	buffer_wbl2
	s_waitcnt vmcnt(0)
	global_atomic_add_x2 v[6:7], v[26:27], off offset:8
.LBB2_335:                              ;   in Loop: Header=BB2_278 Depth=1
	s_or_b64 exec, exec, s[18:19]
	s_waitcnt vmcnt(0)
	global_load_dwordx2 v[8:9], v[6:7], off offset:16
	s_waitcnt vmcnt(0)
	v_cmp_eq_u64_e32 vcc, 0, v[8:9]
	s_cbranch_vccnz .LBB2_337
; %bb.336:                              ;   in Loop: Header=BB2_278 Depth=1
	global_load_dword v26, v[6:7], off offset:24
	s_waitcnt vmcnt(0)
	v_and_b32_e32 v6, 0xffffff, v26
	v_readfirstlane_b32 m0, v6
	buffer_wbl2
	global_store_dwordx2 v[8:9], v[26:27], off
	s_sendmsg sendmsg(MSG_INTERRUPT)
.LBB2_337:                              ;   in Loop: Header=BB2_278 Depth=1
	s_or_b64 exec, exec, s[16:17]
	v_add_co_u32_e32 v2, vcc, v2, v30
	v_addc_co_u32_e32 v3, vcc, 0, v3, vcc
	s_branch .LBB2_339
.LBB2_338:                              ;   in Loop: Header=BB2_278 Depth=1
	s_branch .LBB2_343
.LBB2_339:                              ;   Parent Loop BB2_278 Depth=1
                                        ; =>  This Inner Loop Header: Depth=2
	v_mov_b32_e32 v6, 1
	s_and_saveexec_b64 s[16:17], s[4:5]
	s_cbranch_execz .LBB2_341
; %bb.340:                              ;   in Loop: Header=BB2_339 Depth=2
	global_load_dword v6, v[28:29], off offset:20 glc
	s_waitcnt vmcnt(0)
	buffer_invl2
	buffer_wbinvl1_vol
	v_and_b32_e32 v6, 1, v6
.LBB2_341:                              ;   in Loop: Header=BB2_339 Depth=2
	s_or_b64 exec, exec, s[16:17]
	v_readfirstlane_b32 s16, v6
	s_cmp_eq_u32 s16, 0
	s_cbranch_scc1 .LBB2_338
; %bb.342:                              ;   in Loop: Header=BB2_339 Depth=2
	s_sleep 1
	s_cbranch_execnz .LBB2_339
.LBB2_343:                              ;   in Loop: Header=BB2_278 Depth=1
	global_load_dwordx4 v[6:9], v[2:3], off
	s_and_saveexec_b64 s[16:17], s[4:5]
	s_cbranch_execz .LBB2_277
; %bb.344:                              ;   in Loop: Header=BB2_278 Depth=1
	global_load_dwordx2 v[2:3], v27, s[6:7] offset:40
	global_load_dwordx2 v[12:13], v27, s[6:7] offset:24 glc
	global_load_dwordx2 v[14:15], v27, s[6:7]
	s_waitcnt vmcnt(3)
	v_mov_b32_e32 v9, s15
	s_waitcnt vmcnt(2)
	v_add_co_u32_e32 v11, vcc, 1, v2
	v_addc_co_u32_e32 v16, vcc, 0, v3, vcc
	v_add_co_u32_e32 v8, vcc, s14, v11
	v_addc_co_u32_e32 v9, vcc, v16, v9, vcc
	v_cmp_eq_u64_e32 vcc, 0, v[8:9]
	v_cndmask_b32_e32 v9, v9, v16, vcc
	v_cndmask_b32_e32 v8, v8, v11, vcc
	v_and_b32_e32 v3, v9, v3
	v_and_b32_e32 v2, v8, v2
	v_mul_lo_u32 v3, v3, 24
	v_mul_hi_u32 v11, v2, 24
	v_mul_lo_u32 v2, v2, 24
	v_add_u32_e32 v3, v11, v3
	s_waitcnt vmcnt(0)
	v_add_co_u32_e32 v2, vcc, v14, v2
	v_addc_co_u32_e32 v3, vcc, v15, v3, vcc
	v_mov_b32_e32 v10, v12
	global_store_dwordx2 v[2:3], v[12:13], off
	v_mov_b32_e32 v11, v13
	buffer_wbl2
	s_waitcnt vmcnt(0)
	global_atomic_cmpswap_x2 v[10:11], v27, v[8:11], s[6:7] offset:24 glc
	s_waitcnt vmcnt(0)
	v_cmp_ne_u64_e32 vcc, v[10:11], v[12:13]
	s_and_b64 exec, exec, vcc
	s_cbranch_execz .LBB2_277
; %bb.345:                              ;   in Loop: Header=BB2_278 Depth=1
	s_mov_b64 s[4:5], 0
.LBB2_346:                              ;   Parent Loop BB2_278 Depth=1
                                        ; =>  This Inner Loop Header: Depth=2
	s_sleep 1
	global_store_dwordx2 v[2:3], v[10:11], off
	buffer_wbl2
	s_waitcnt vmcnt(0)
	global_atomic_cmpswap_x2 v[12:13], v27, v[8:11], s[6:7] offset:24 glc
	s_waitcnt vmcnt(0)
	v_cmp_eq_u64_e32 vcc, v[12:13], v[10:11]
	s_or_b64 s[4:5], vcc, s[4:5]
	v_pk_mov_b32 v[10:11], v[12:13], v[12:13] op_sel:[0,1]
	s_andn2_b64 exec, exec, s[4:5]
	s_cbranch_execnz .LBB2_346
	s_branch .LBB2_277
.LBB2_347:                              ;   in Loop: Header=BB2_278 Depth=1
                                        ; implicit-def: $vgpr10_vgpr11
                                        ; implicit-def: $sgpr19
	s_branch .LBB2_290
.LBB2_348:                              ;   in Loop: Header=BB2_278 Depth=1
                                        ; implicit-def: $sgpr18
	s_branch .LBB2_296
.LBB2_349:                              ;   in Loop: Header=BB2_278 Depth=1
                                        ; implicit-def: $vgpr14_vgpr15
                                        ; implicit-def: $sgpr19
	s_branch .LBB2_302
.LBB2_350:                              ;   in Loop: Header=BB2_278 Depth=1
                                        ; implicit-def: $sgpr18
	s_branch .LBB2_308
.LBB2_351:                              ;   in Loop: Header=BB2_278 Depth=1
                                        ; implicit-def: $vgpr18_vgpr19
                                        ; implicit-def: $sgpr19
	s_branch .LBB2_314
.LBB2_352:                              ;   in Loop: Header=BB2_278 Depth=1
	s_branch .LBB2_320
.LBB2_353:                              ;   in Loop: Header=BB2_278 Depth=1
	v_pk_mov_b32 v[10:11], 0, 0
	s_mov_b32 s19, 0
	s_cbranch_execnz .LBB2_291
	s_branch .LBB2_290
.LBB2_354:                              ;   in Loop: Header=BB2_278 Depth=1
	v_pk_mov_b32 v[12:13], 0, 0
	s_mov_b32 s18, 0
	s_cbranch_execnz .LBB2_297
	s_branch .LBB2_296
.LBB2_355:                              ;   in Loop: Header=BB2_278 Depth=1
	v_pk_mov_b32 v[14:15], 0, 0
	s_mov_b32 s19, 0
	s_cbranch_execnz .LBB2_303
	s_branch .LBB2_302
.LBB2_356:                              ;   in Loop: Header=BB2_278 Depth=1
	v_pk_mov_b32 v[16:17], 0, 0
	s_mov_b32 s18, 0
	s_cbranch_execnz .LBB2_309
	s_branch .LBB2_308
.LBB2_357:                              ;   in Loop: Header=BB2_278 Depth=1
	v_pk_mov_b32 v[18:19], 0, 0
	s_mov_b32 s19, 0
	s_cbranch_execnz .LBB2_315
	s_branch .LBB2_314
.LBB2_358:                              ;   in Loop: Header=BB2_278 Depth=1
	v_pk_mov_b32 v[20:21], 0, 0
	s_cbranch_execnz .LBB2_321
	s_branch .LBB2_320
.LBB2_359:
	s_branch .LBB2_387
.LBB2_360:
	s_cbranch_execz .LBB2_387
; %bb.361:
	v_readfirstlane_b32 s4, v31
	v_cmp_eq_u32_e64 s[4:5], s4, v31
	s_waitcnt vmcnt(0)
	v_pk_mov_b32 v[8:9], 0, 0
	s_and_saveexec_b64 s[8:9], s[4:5]
	s_cbranch_execz .LBB2_367
; %bb.362:
	v_mov_b32_e32 v2, 0
	global_load_dwordx2 v[6:7], v2, s[6:7] offset:24 glc
	s_waitcnt vmcnt(0)
	buffer_invl2
	buffer_wbinvl1_vol
	global_load_dwordx2 v[4:5], v2, s[6:7] offset:40
	global_load_dwordx2 v[8:9], v2, s[6:7]
	s_waitcnt vmcnt(1)
	v_and_b32_e32 v3, v4, v6
	v_and_b32_e32 v4, v5, v7
	v_mul_lo_u32 v4, v4, 24
	v_mul_hi_u32 v5, v3, 24
	v_mul_lo_u32 v3, v3, 24
	v_add_u32_e32 v5, v5, v4
	s_waitcnt vmcnt(0)
	v_add_co_u32_e32 v4, vcc, v8, v3
	v_addc_co_u32_e32 v5, vcc, v9, v5, vcc
	global_load_dwordx2 v[4:5], v[4:5], off glc
	s_waitcnt vmcnt(0)
	global_atomic_cmpswap_x2 v[8:9], v2, v[4:7], s[6:7] offset:24 glc
	s_waitcnt vmcnt(0)
	buffer_invl2
	buffer_wbinvl1_vol
	v_cmp_ne_u64_e32 vcc, v[8:9], v[6:7]
	s_and_saveexec_b64 s[10:11], vcc
	s_cbranch_execz .LBB2_366
; %bb.363:
	s_mov_b64 s[12:13], 0
.LBB2_364:                              ; =>This Inner Loop Header: Depth=1
	s_sleep 1
	global_load_dwordx2 v[4:5], v2, s[6:7] offset:40
	global_load_dwordx2 v[10:11], v2, s[6:7]
	v_pk_mov_b32 v[6:7], v[8:9], v[8:9] op_sel:[0,1]
	s_waitcnt vmcnt(1)
	v_and_b32_e32 v4, v4, v6
	v_and_b32_e32 v3, v5, v7
	s_waitcnt vmcnt(0)
	v_mad_u64_u32 v[4:5], s[14:15], v4, 24, v[10:11]
	v_mov_b32_e32 v8, v5
	v_mad_u64_u32 v[8:9], s[14:15], v3, 24, v[8:9]
	v_mov_b32_e32 v5, v8
	global_load_dwordx2 v[4:5], v[4:5], off glc
	s_waitcnt vmcnt(0)
	global_atomic_cmpswap_x2 v[8:9], v2, v[4:7], s[6:7] offset:24 glc
	s_waitcnt vmcnt(0)
	buffer_invl2
	buffer_wbinvl1_vol
	v_cmp_eq_u64_e32 vcc, v[8:9], v[6:7]
	s_or_b64 s[12:13], vcc, s[12:13]
	s_andn2_b64 exec, exec, s[12:13]
	s_cbranch_execnz .LBB2_364
; %bb.365:
	s_or_b64 exec, exec, s[12:13]
.LBB2_366:
	s_or_b64 exec, exec, s[10:11]
.LBB2_367:
	s_or_b64 exec, exec, s[8:9]
	v_mov_b32_e32 v2, 0
	global_load_dwordx2 v[10:11], v2, s[6:7] offset:40
	global_load_dwordx4 v[4:7], v2, s[6:7]
	v_readfirstlane_b32 s8, v8
	v_readfirstlane_b32 s9, v9
	s_mov_b64 s[10:11], exec
	s_waitcnt vmcnt(1)
	v_readfirstlane_b32 s12, v10
	v_readfirstlane_b32 s13, v11
	s_and_b64 s[12:13], s[8:9], s[12:13]
	s_mul_i32 s14, s13, 24
	s_mul_hi_u32 s15, s12, 24
	s_mul_i32 s16, s12, 24
	s_add_i32 s14, s15, s14
	v_mov_b32_e32 v3, s14
	s_waitcnt vmcnt(0)
	v_add_co_u32_e32 v8, vcc, s16, v4
	v_addc_co_u32_e32 v9, vcc, v5, v3, vcc
	s_and_saveexec_b64 s[14:15], s[4:5]
	s_cbranch_execz .LBB2_369
; %bb.368:
	v_pk_mov_b32 v[10:11], s[10:11], s[10:11] op_sel:[0,1]
	v_mov_b32_e32 v12, 2
	v_mov_b32_e32 v13, 1
	global_store_dwordx4 v[8:9], v[10:13], off offset:8
.LBB2_369:
	s_or_b64 exec, exec, s[14:15]
	s_lshl_b64 s[10:11], s[12:13], 12
	v_mov_b32_e32 v3, s11
	v_add_co_u32_e32 v6, vcc, s10, v6
	v_addc_co_u32_e32 v7, vcc, v7, v3, vcc
	s_movk_i32 s10, 0xff1d
	s_mov_b32 s12, 0
	v_and_or_b32 v0, v0, s10, 34
	v_mov_b32_e32 v3, v2
	v_readfirstlane_b32 s10, v6
	v_readfirstlane_b32 s11, v7
	s_mov_b32 s13, s12
	s_mov_b32 s14, s12
	;; [unrolled: 1-line block ×3, first 2 shown]
	s_nop 1
	global_store_dwordx4 v30, v[0:3], s[10:11]
	s_nop 0
	v_pk_mov_b32 v[0:1], s[12:13], s[12:13] op_sel:[0,1]
	v_pk_mov_b32 v[2:3], s[14:15], s[14:15] op_sel:[0,1]
	global_store_dwordx4 v30, v[0:3], s[10:11] offset:16
	global_store_dwordx4 v30, v[0:3], s[10:11] offset:32
	;; [unrolled: 1-line block ×3, first 2 shown]
	s_and_saveexec_b64 s[10:11], s[4:5]
	s_cbranch_execz .LBB2_377
; %bb.370:
	v_mov_b32_e32 v6, 0
	global_load_dwordx2 v[12:13], v6, s[6:7] offset:32 glc
	global_load_dwordx2 v[0:1], v6, s[6:7] offset:40
	v_mov_b32_e32 v10, s8
	v_mov_b32_e32 v11, s9
	s_waitcnt vmcnt(0)
	v_readfirstlane_b32 s12, v0
	v_readfirstlane_b32 s13, v1
	s_and_b64 s[12:13], s[12:13], s[8:9]
	s_mul_i32 s13, s13, 24
	s_mul_hi_u32 s14, s12, 24
	s_mul_i32 s12, s12, 24
	s_add_i32 s13, s14, s13
	v_mov_b32_e32 v0, s13
	v_add_co_u32_e32 v4, vcc, s12, v4
	v_addc_co_u32_e32 v5, vcc, v5, v0, vcc
	global_store_dwordx2 v[4:5], v[12:13], off
	buffer_wbl2
	s_waitcnt vmcnt(0)
	global_atomic_cmpswap_x2 v[2:3], v6, v[10:13], s[6:7] offset:32 glc
	s_waitcnt vmcnt(0)
	v_cmp_ne_u64_e32 vcc, v[2:3], v[12:13]
	s_and_saveexec_b64 s[12:13], vcc
	s_cbranch_execz .LBB2_373
; %bb.371:
	s_mov_b64 s[14:15], 0
.LBB2_372:                              ; =>This Inner Loop Header: Depth=1
	s_sleep 1
	global_store_dwordx2 v[4:5], v[2:3], off
	v_mov_b32_e32 v0, s8
	v_mov_b32_e32 v1, s9
	buffer_wbl2
	s_waitcnt vmcnt(0)
	global_atomic_cmpswap_x2 v[0:1], v6, v[0:3], s[6:7] offset:32 glc
	s_waitcnt vmcnt(0)
	v_cmp_eq_u64_e32 vcc, v[0:1], v[2:3]
	s_or_b64 s[14:15], vcc, s[14:15]
	v_pk_mov_b32 v[2:3], v[0:1], v[0:1] op_sel:[0,1]
	s_andn2_b64 exec, exec, s[14:15]
	s_cbranch_execnz .LBB2_372
.LBB2_373:
	s_or_b64 exec, exec, s[12:13]
	v_mov_b32_e32 v3, 0
	global_load_dwordx2 v[0:1], v3, s[6:7] offset:16
	s_mov_b64 s[12:13], exec
	v_mbcnt_lo_u32_b32 v2, s12, 0
	v_mbcnt_hi_u32_b32 v2, s13, v2
	v_cmp_eq_u32_e32 vcc, 0, v2
	s_and_saveexec_b64 s[14:15], vcc
	s_cbranch_execz .LBB2_375
; %bb.374:
	s_bcnt1_i32_b64 s12, s[12:13]
	v_mov_b32_e32 v2, s12
	buffer_wbl2
	s_waitcnt vmcnt(0)
	global_atomic_add_x2 v[0:1], v[2:3], off offset:8
.LBB2_375:
	s_or_b64 exec, exec, s[14:15]
	s_waitcnt vmcnt(0)
	global_load_dwordx2 v[2:3], v[0:1], off offset:16
	s_waitcnt vmcnt(0)
	v_cmp_eq_u64_e32 vcc, 0, v[2:3]
	s_cbranch_vccnz .LBB2_377
; %bb.376:
	global_load_dword v0, v[0:1], off offset:24
	v_mov_b32_e32 v1, 0
	buffer_wbl2
	s_waitcnt vmcnt(0)
	global_store_dwordx2 v[2:3], v[0:1], off
	v_and_b32_e32 v0, 0xffffff, v0
	v_readfirstlane_b32 m0, v0
	s_sendmsg sendmsg(MSG_INTERRUPT)
.LBB2_377:
	s_or_b64 exec, exec, s[10:11]
	s_branch .LBB2_379
.LBB2_378:
	s_branch .LBB2_383
.LBB2_379:                              ; =>This Inner Loop Header: Depth=1
	v_mov_b32_e32 v0, 1
	s_and_saveexec_b64 s[10:11], s[4:5]
	s_cbranch_execz .LBB2_381
; %bb.380:                              ;   in Loop: Header=BB2_379 Depth=1
	global_load_dword v0, v[8:9], off offset:20 glc
	s_waitcnt vmcnt(0)
	buffer_invl2
	buffer_wbinvl1_vol
	v_and_b32_e32 v0, 1, v0
.LBB2_381:                              ;   in Loop: Header=BB2_379 Depth=1
	s_or_b64 exec, exec, s[10:11]
	v_readfirstlane_b32 s10, v0
	s_cmp_eq_u32 s10, 0
	s_cbranch_scc1 .LBB2_378
; %bb.382:                              ;   in Loop: Header=BB2_379 Depth=1
	s_sleep 1
	s_cbranch_execnz .LBB2_379
.LBB2_383:
	s_and_saveexec_b64 s[10:11], s[4:5]
	s_cbranch_execz .LBB2_386
; %bb.384:
	v_mov_b32_e32 v6, 0
	global_load_dwordx2 v[4:5], v6, s[6:7] offset:40
	global_load_dwordx2 v[8:9], v6, s[6:7] offset:24 glc
	global_load_dwordx2 v[10:11], v6, s[6:7]
	v_mov_b32_e32 v1, s9
	s_mov_b64 s[4:5], 0
	s_waitcnt vmcnt(2)
	v_add_co_u32_e32 v3, vcc, 1, v4
	v_addc_co_u32_e32 v7, vcc, 0, v5, vcc
	v_add_co_u32_e32 v0, vcc, s8, v3
	v_addc_co_u32_e32 v1, vcc, v7, v1, vcc
	v_cmp_eq_u64_e32 vcc, 0, v[0:1]
	v_cndmask_b32_e32 v1, v1, v7, vcc
	v_cndmask_b32_e32 v0, v0, v3, vcc
	v_and_b32_e32 v3, v1, v5
	v_and_b32_e32 v4, v0, v4
	v_mul_lo_u32 v3, v3, 24
	v_mul_hi_u32 v5, v4, 24
	v_mul_lo_u32 v4, v4, 24
	v_add_u32_e32 v3, v5, v3
	s_waitcnt vmcnt(0)
	v_add_co_u32_e32 v4, vcc, v10, v4
	v_addc_co_u32_e32 v5, vcc, v11, v3, vcc
	v_mov_b32_e32 v2, v8
	global_store_dwordx2 v[4:5], v[8:9], off
	v_mov_b32_e32 v3, v9
	buffer_wbl2
	s_waitcnt vmcnt(0)
	global_atomic_cmpswap_x2 v[2:3], v6, v[0:3], s[6:7] offset:24 glc
	s_waitcnt vmcnt(0)
	v_cmp_ne_u64_e32 vcc, v[2:3], v[8:9]
	s_and_b64 exec, exec, vcc
	s_cbranch_execz .LBB2_386
.LBB2_385:                              ; =>This Inner Loop Header: Depth=1
	s_sleep 1
	global_store_dwordx2 v[4:5], v[2:3], off
	buffer_wbl2
	s_waitcnt vmcnt(0)
	global_atomic_cmpswap_x2 v[8:9], v6, v[0:3], s[6:7] offset:24 glc
	s_waitcnt vmcnt(0)
	v_cmp_eq_u64_e32 vcc, v[8:9], v[2:3]
	s_or_b64 s[4:5], vcc, s[4:5]
	v_pk_mov_b32 v[2:3], v[8:9], v[8:9] op_sel:[0,1]
	s_andn2_b64 exec, exec, s[4:5]
	s_cbranch_execnz .LBB2_385
.LBB2_386:
	s_or_b64 exec, exec, s[10:11]
.LBB2_387:
	s_getpc_b64 s[4:5]
	s_add_u32 s4, s4, .str.29@rel32@lo+4
	s_addc_u32 s5, s5, .str.29@rel32@hi+12
	s_getpc_b64 s[6:7]
	s_add_u32 s6, s6, .str.19@rel32@lo+4
	s_addc_u32 s7, s7, .str.19@rel32@hi+12
	s_getpc_b64 s[10:11]
	s_add_u32 s10, s10, __PRETTY_FUNCTION__._ZN7VecsMemIjLi8192EE5fetchEi@rel32@lo+4
	s_addc_u32 s11, s11, __PRETTY_FUNCTION__._ZN7VecsMemIjLi8192EE5fetchEi@rel32@hi+12
	s_mov_b64 s[8:9], s[34:35]
	s_waitcnt vmcnt(0)
	v_mov_b32_e32 v0, s4
	v_mov_b32_e32 v1, s5
	;; [unrolled: 1-line block ×7, first 2 shown]
	s_getpc_b64 s[12:13]
	s_add_u32 s12, s12, __assert_fail@rel32@lo+4
	s_addc_u32 s13, s13, __assert_fail@rel32@hi+12
	s_swappc_b64 s[30:31], s[12:13]
	s_or_b64 s[4:5], s[28:29], exec
.LBB2_388:
	s_or_b64 exec, exec, s[46:47]
	s_andn2_b64 s[6:7], s[26:27], exec
	s_and_b64 s[8:9], s[44:45], exec
	s_or_b64 s[26:27], s[6:7], s[8:9]
	s_andn2_b64 s[6:7], s[28:29], exec
	s_and_b64 s[4:5], s[4:5], exec
	v_mov_b32_e32 v0, s48
	s_or_b64 s[28:29], s[6:7], s[4:5]
.LBB2_389:
	s_or_b64 exec, exec, s[42:43]
	s_andn2_b64 s[8:9], s[36:37], exec
	s_and_b64 s[10:11], s[28:29], exec
	s_and_b64 s[4:5], s[26:27], exec
	s_xor_b64 s[6:7], exec, -1
	s_or_b64 s[8:9], s[8:9], s[10:11]
.LBB2_390:
	s_or_b64 exec, exec, s[40:41]
	s_and_b64 s[26:27], s[6:7], exec
	s_andn2_b64 s[6:7], s[36:37], exec
	s_and_b64 s[8:9], s[8:9], exec
	s_and_b64 s[4:5], s[4:5], exec
	s_or_b64 s[36:37], s[6:7], s[8:9]
	s_or_b64 exec, exec, s[38:39]
	s_and_saveexec_b64 s[6:7], s[36:37]
	s_xor_b64 s[6:7], exec, s[6:7]
	s_cbranch_execnz .LBB2_8
.LBB2_391:
	s_or_b64 exec, exec, s[6:7]
	s_and_saveexec_b64 s[6:7], s[26:27]
	s_cbranch_execz .LBB2_393
.LBB2_392:
	v_mov_b32_e32 v0, 0
	v_mov_b32_e32 v1, v0
	;; [unrolled: 1-line block ×4, first 2 shown]
	s_or_b64 s[4:5], s[4:5], exec
	flat_store_dwordx4 v[46:47], v[0:3]
.LBB2_393:
	s_or_b64 exec, exec, s[6:7]
	s_and_saveexec_b64 s[6:7], s[4:5]
	s_or_b64 exec, exec, s[6:7]
	buffer_load_dword v59, off, s[0:3], s33 ; 4-byte Folded Reload
	buffer_load_dword v58, off, s[0:3], s33 offset:4 ; 4-byte Folded Reload
	buffer_load_dword v57, off, s[0:3], s33 offset:8 ; 4-byte Folded Reload
	;; [unrolled: 1-line block ×11, first 2 shown]
	v_readlane_b32 s30, v60, 52
	v_readlane_b32 s31, v60, 53
	;; [unrolled: 1-line block ×55, first 2 shown]
	s_or_saveexec_b64 s[6:7], -1
	buffer_load_dword v60, off, s[0:3], s33 offset:104 ; 4-byte Folded Reload
	s_mov_b64 exec, s[6:7]
	s_addk_i32 s32, 0xe400
	s_mov_b32 s33, s4
	s_waitcnt vmcnt(0) lgkmcnt(0)
	s_setpc_b64 s[30:31]
.LBB2_394:
	s_mov_b64 s[4:5], 0
	s_branch .LBB2_396
.LBB2_395:
	s_mov_b64 s[4:5], -1
.LBB2_396:
	s_and_b64 vcc, exec, s[4:5]
	s_cbranch_vccz .LBB2_423
; %bb.397:
	v_readfirstlane_b32 s4, v31
	v_cmp_eq_u32_e64 s[4:5], s4, v31
	s_waitcnt vmcnt(0)
	v_pk_mov_b32 v[8:9], 0, 0
	s_and_saveexec_b64 s[8:9], s[4:5]
	s_cbranch_execz .LBB2_403
; %bb.398:
	v_mov_b32_e32 v2, 0
	global_load_dwordx2 v[6:7], v2, s[6:7] offset:24 glc
	s_waitcnt vmcnt(0)
	buffer_invl2
	buffer_wbinvl1_vol
	global_load_dwordx2 v[4:5], v2, s[6:7] offset:40
	global_load_dwordx2 v[8:9], v2, s[6:7]
	s_waitcnt vmcnt(1)
	v_and_b32_e32 v3, v4, v6
	v_and_b32_e32 v4, v5, v7
	v_mul_lo_u32 v4, v4, 24
	v_mul_hi_u32 v5, v3, 24
	v_mul_lo_u32 v3, v3, 24
	v_add_u32_e32 v5, v5, v4
	s_waitcnt vmcnt(0)
	v_add_co_u32_e32 v4, vcc, v8, v3
	v_addc_co_u32_e32 v5, vcc, v9, v5, vcc
	global_load_dwordx2 v[4:5], v[4:5], off glc
	s_waitcnt vmcnt(0)
	global_atomic_cmpswap_x2 v[8:9], v2, v[4:7], s[6:7] offset:24 glc
	s_waitcnt vmcnt(0)
	buffer_invl2
	buffer_wbinvl1_vol
	v_cmp_ne_u64_e32 vcc, v[8:9], v[6:7]
	s_and_saveexec_b64 s[10:11], vcc
	s_cbranch_execz .LBB2_402
; %bb.399:
	s_mov_b64 s[12:13], 0
.LBB2_400:                              ; =>This Inner Loop Header: Depth=1
	s_sleep 1
	global_load_dwordx2 v[4:5], v2, s[6:7] offset:40
	global_load_dwordx2 v[10:11], v2, s[6:7]
	v_pk_mov_b32 v[6:7], v[8:9], v[8:9] op_sel:[0,1]
	s_waitcnt vmcnt(1)
	v_and_b32_e32 v4, v4, v6
	v_and_b32_e32 v3, v5, v7
	s_waitcnt vmcnt(0)
	v_mad_u64_u32 v[4:5], s[14:15], v4, 24, v[10:11]
	v_mov_b32_e32 v8, v5
	v_mad_u64_u32 v[8:9], s[14:15], v3, 24, v[8:9]
	v_mov_b32_e32 v5, v8
	global_load_dwordx2 v[4:5], v[4:5], off glc
	s_waitcnt vmcnt(0)
	global_atomic_cmpswap_x2 v[8:9], v2, v[4:7], s[6:7] offset:24 glc
	s_waitcnt vmcnt(0)
	buffer_invl2
	buffer_wbinvl1_vol
	v_cmp_eq_u64_e32 vcc, v[8:9], v[6:7]
	s_or_b64 s[12:13], vcc, s[12:13]
	s_andn2_b64 exec, exec, s[12:13]
	s_cbranch_execnz .LBB2_400
; %bb.401:
	s_or_b64 exec, exec, s[12:13]
.LBB2_402:
	s_or_b64 exec, exec, s[10:11]
.LBB2_403:
	s_or_b64 exec, exec, s[8:9]
	v_mov_b32_e32 v2, 0
	global_load_dwordx2 v[10:11], v2, s[6:7] offset:40
	global_load_dwordx4 v[4:7], v2, s[6:7]
	v_readfirstlane_b32 s8, v8
	v_readfirstlane_b32 s9, v9
	s_mov_b64 s[10:11], exec
	s_waitcnt vmcnt(1)
	v_readfirstlane_b32 s12, v10
	v_readfirstlane_b32 s13, v11
	s_and_b64 s[12:13], s[8:9], s[12:13]
	s_mul_i32 s14, s13, 24
	s_mul_hi_u32 s15, s12, 24
	s_mul_i32 s16, s12, 24
	s_add_i32 s14, s15, s14
	v_mov_b32_e32 v3, s14
	s_waitcnt vmcnt(0)
	v_add_co_u32_e32 v8, vcc, s16, v4
	v_addc_co_u32_e32 v9, vcc, v5, v3, vcc
	s_and_saveexec_b64 s[14:15], s[4:5]
	s_cbranch_execz .LBB2_405
; %bb.404:
	v_pk_mov_b32 v[10:11], s[10:11], s[10:11] op_sel:[0,1]
	v_mov_b32_e32 v12, 2
	v_mov_b32_e32 v13, 1
	global_store_dwordx4 v[8:9], v[10:13], off offset:8
.LBB2_405:
	s_or_b64 exec, exec, s[14:15]
	s_lshl_b64 s[10:11], s[12:13], 12
	v_mov_b32_e32 v3, s11
	v_add_co_u32_e32 v6, vcc, s10, v6
	v_addc_co_u32_e32 v7, vcc, v7, v3, vcc
	s_movk_i32 s10, 0xff1d
	s_mov_b32 s12, 0
	v_and_or_b32 v0, v0, s10, 34
	v_mov_b32_e32 v3, v2
	v_readfirstlane_b32 s10, v6
	v_readfirstlane_b32 s11, v7
	s_mov_b32 s13, s12
	s_mov_b32 s14, s12
	;; [unrolled: 1-line block ×3, first 2 shown]
	s_nop 1
	global_store_dwordx4 v30, v[0:3], s[10:11]
	s_nop 0
	v_pk_mov_b32 v[0:1], s[12:13], s[12:13] op_sel:[0,1]
	v_pk_mov_b32 v[2:3], s[14:15], s[14:15] op_sel:[0,1]
	global_store_dwordx4 v30, v[0:3], s[10:11] offset:16
	global_store_dwordx4 v30, v[0:3], s[10:11] offset:32
	;; [unrolled: 1-line block ×3, first 2 shown]
	s_and_saveexec_b64 s[10:11], s[4:5]
	s_cbranch_execz .LBB2_413
; %bb.406:
	v_mov_b32_e32 v6, 0
	global_load_dwordx2 v[12:13], v6, s[6:7] offset:32 glc
	global_load_dwordx2 v[0:1], v6, s[6:7] offset:40
	v_mov_b32_e32 v10, s8
	v_mov_b32_e32 v11, s9
	s_waitcnt vmcnt(0)
	v_readfirstlane_b32 s12, v0
	v_readfirstlane_b32 s13, v1
	s_and_b64 s[12:13], s[12:13], s[8:9]
	s_mul_i32 s13, s13, 24
	s_mul_hi_u32 s14, s12, 24
	s_mul_i32 s12, s12, 24
	s_add_i32 s13, s14, s13
	v_mov_b32_e32 v0, s13
	v_add_co_u32_e32 v4, vcc, s12, v4
	v_addc_co_u32_e32 v5, vcc, v5, v0, vcc
	global_store_dwordx2 v[4:5], v[12:13], off
	buffer_wbl2
	s_waitcnt vmcnt(0)
	global_atomic_cmpswap_x2 v[2:3], v6, v[10:13], s[6:7] offset:32 glc
	s_waitcnt vmcnt(0)
	v_cmp_ne_u64_e32 vcc, v[2:3], v[12:13]
	s_and_saveexec_b64 s[12:13], vcc
	s_cbranch_execz .LBB2_409
; %bb.407:
	s_mov_b64 s[14:15], 0
.LBB2_408:                              ; =>This Inner Loop Header: Depth=1
	s_sleep 1
	global_store_dwordx2 v[4:5], v[2:3], off
	v_mov_b32_e32 v0, s8
	v_mov_b32_e32 v1, s9
	buffer_wbl2
	s_waitcnt vmcnt(0)
	global_atomic_cmpswap_x2 v[0:1], v6, v[0:3], s[6:7] offset:32 glc
	s_waitcnt vmcnt(0)
	v_cmp_eq_u64_e32 vcc, v[0:1], v[2:3]
	s_or_b64 s[14:15], vcc, s[14:15]
	v_pk_mov_b32 v[2:3], v[0:1], v[0:1] op_sel:[0,1]
	s_andn2_b64 exec, exec, s[14:15]
	s_cbranch_execnz .LBB2_408
.LBB2_409:
	s_or_b64 exec, exec, s[12:13]
	v_mov_b32_e32 v3, 0
	global_load_dwordx2 v[0:1], v3, s[6:7] offset:16
	s_mov_b64 s[12:13], exec
	v_mbcnt_lo_u32_b32 v2, s12, 0
	v_mbcnt_hi_u32_b32 v2, s13, v2
	v_cmp_eq_u32_e32 vcc, 0, v2
	s_and_saveexec_b64 s[14:15], vcc
	s_cbranch_execz .LBB2_411
; %bb.410:
	s_bcnt1_i32_b64 s12, s[12:13]
	v_mov_b32_e32 v2, s12
	buffer_wbl2
	s_waitcnt vmcnt(0)
	global_atomic_add_x2 v[0:1], v[2:3], off offset:8
.LBB2_411:
	s_or_b64 exec, exec, s[14:15]
	s_waitcnt vmcnt(0)
	global_load_dwordx2 v[2:3], v[0:1], off offset:16
	s_waitcnt vmcnt(0)
	v_cmp_eq_u64_e32 vcc, 0, v[2:3]
	s_cbranch_vccnz .LBB2_413
; %bb.412:
	global_load_dword v0, v[0:1], off offset:24
	v_mov_b32_e32 v1, 0
	buffer_wbl2
	s_waitcnt vmcnt(0)
	global_store_dwordx2 v[2:3], v[0:1], off
	v_and_b32_e32 v0, 0xffffff, v0
	v_readfirstlane_b32 m0, v0
	s_sendmsg sendmsg(MSG_INTERRUPT)
.LBB2_413:
	s_or_b64 exec, exec, s[10:11]
	s_branch .LBB2_415
.LBB2_414:
	s_branch .LBB2_419
.LBB2_415:                              ; =>This Inner Loop Header: Depth=1
	v_mov_b32_e32 v0, 1
	s_and_saveexec_b64 s[10:11], s[4:5]
	s_cbranch_execz .LBB2_417
; %bb.416:                              ;   in Loop: Header=BB2_415 Depth=1
	global_load_dword v0, v[8:9], off offset:20 glc
	s_waitcnt vmcnt(0)
	buffer_invl2
	buffer_wbinvl1_vol
	v_and_b32_e32 v0, 1, v0
.LBB2_417:                              ;   in Loop: Header=BB2_415 Depth=1
	s_or_b64 exec, exec, s[10:11]
	v_readfirstlane_b32 s10, v0
	s_cmp_eq_u32 s10, 0
	s_cbranch_scc1 .LBB2_414
; %bb.418:                              ;   in Loop: Header=BB2_415 Depth=1
	s_sleep 1
	s_cbranch_execnz .LBB2_415
.LBB2_419:
	s_and_saveexec_b64 s[10:11], s[4:5]
	s_cbranch_execz .LBB2_422
; %bb.420:
	v_mov_b32_e32 v6, 0
	global_load_dwordx2 v[4:5], v6, s[6:7] offset:40
	global_load_dwordx2 v[8:9], v6, s[6:7] offset:24 glc
	global_load_dwordx2 v[10:11], v6, s[6:7]
	v_mov_b32_e32 v1, s9
	s_mov_b64 s[4:5], 0
	s_waitcnt vmcnt(2)
	v_add_co_u32_e32 v3, vcc, 1, v4
	v_addc_co_u32_e32 v7, vcc, 0, v5, vcc
	v_add_co_u32_e32 v0, vcc, s8, v3
	v_addc_co_u32_e32 v1, vcc, v7, v1, vcc
	v_cmp_eq_u64_e32 vcc, 0, v[0:1]
	v_cndmask_b32_e32 v1, v1, v7, vcc
	v_cndmask_b32_e32 v0, v0, v3, vcc
	v_and_b32_e32 v3, v1, v5
	v_and_b32_e32 v4, v0, v4
	v_mul_lo_u32 v3, v3, 24
	v_mul_hi_u32 v5, v4, 24
	v_mul_lo_u32 v4, v4, 24
	v_add_u32_e32 v3, v5, v3
	s_waitcnt vmcnt(0)
	v_add_co_u32_e32 v4, vcc, v10, v4
	v_addc_co_u32_e32 v5, vcc, v11, v3, vcc
	v_mov_b32_e32 v2, v8
	global_store_dwordx2 v[4:5], v[8:9], off
	v_mov_b32_e32 v3, v9
	buffer_wbl2
	s_waitcnt vmcnt(0)
	global_atomic_cmpswap_x2 v[2:3], v6, v[0:3], s[6:7] offset:24 glc
	s_waitcnt vmcnt(0)
	v_cmp_ne_u64_e32 vcc, v[2:3], v[8:9]
	s_and_b64 exec, exec, vcc
	s_cbranch_execz .LBB2_422
.LBB2_421:                              ; =>This Inner Loop Header: Depth=1
	s_sleep 1
	global_store_dwordx2 v[4:5], v[2:3], off
	buffer_wbl2
	s_waitcnt vmcnt(0)
	global_atomic_cmpswap_x2 v[8:9], v6, v[0:3], s[6:7] offset:24 glc
	s_waitcnt vmcnt(0)
	v_cmp_eq_u64_e32 vcc, v[8:9], v[2:3]
	s_or_b64 s[4:5], vcc, s[4:5]
	v_pk_mov_b32 v[2:3], v[8:9], v[8:9] op_sel:[0,1]
	s_andn2_b64 exec, exec, s[4:5]
	s_cbranch_execnz .LBB2_421
.LBB2_422:
	s_or_b64 exec, exec, s[10:11]
.LBB2_423:
	s_getpc_b64 s[4:5]
	s_add_u32 s4, s4, .str.29@rel32@lo+4
	s_addc_u32 s5, s5, .str.29@rel32@hi+12
	s_getpc_b64 s[6:7]
	s_add_u32 s6, s6, .str.19@rel32@lo+4
	s_addc_u32 s7, s7, .str.19@rel32@hi+12
	s_getpc_b64 s[10:11]
	s_add_u32 s10, s10, __PRETTY_FUNCTION__._ZN7VecsMemIjLi8192EE5fetchEi@rel32@lo+4
	s_addc_u32 s11, s11, __PRETTY_FUNCTION__._ZN7VecsMemIjLi8192EE5fetchEi@rel32@hi+12
	s_mov_b64 s[8:9], s[34:35]
	s_waitcnt vmcnt(0)
	v_mov_b32_e32 v0, s4
	v_mov_b32_e32 v1, s5
	;; [unrolled: 1-line block ×7, first 2 shown]
	s_getpc_b64 s[12:13]
	s_add_u32 s12, s12, __assert_fail@rel32@lo+4
	s_addc_u32 s13, s13, __assert_fail@rel32@hi+12
	s_swappc_b64 s[30:31], s[12:13]
	s_or_b64 s[4:5], s[46:47], exec
.LBB2_424:
	s_or_b64 exec, exec, s[50:51]
	s_andn2_b64 s[6:7], s[46:47], exec
	s_and_b64 s[4:5], s[4:5], exec
	s_or_b64 s[50:51], s[6:7], s[4:5]
	s_orn2_b64 s[4:5], s[28:29], exec
.LBB2_425:
	s_or_b64 exec, exec, s[26:27]
	s_mov_b64 s[6:7], 0
                                        ; implicit-def: $vgpr0
	s_and_saveexec_b64 s[26:27], s[4:5]
	s_cbranch_execz .LBB2_447
; %bb.426:
	s_mov_b64 s[52:53], 0
	v_cmp_ne_u64_e32 vcc, 0, v[56:57]
	s_mov_b64 s[54:55], s[50:51]
	flat_store_dwordx2 v[46:47], v[56:57] offset:8
                                        ; implicit-def: $vgpr0
	s_and_saveexec_b64 s[4:5], vcc
	s_xor_b64 s[28:29], exec, s[4:5]
	s_cbranch_execz .LBB2_444
; %bb.427:
	v_cmp_lt_i32_e32 vcc, 0, v45
	v_mov_b32_e32 v0, 0
	v_lshlrev_b32_e32 v4, 1, v42
	s_and_saveexec_b64 s[4:5], vcc
	s_cbranch_execz .LBB2_432
; %bb.428:
	buffer_load_dword v0, off, s[0:3], s33 offset:56
	buffer_load_dword v1, off, s[0:3], s33 offset:60
	v_lshlrev_b32_e64 v5, v4, 1
	v_mov_b32_e32 v6, v45
	v_pk_mov_b32 v[2:3], v[56:57], v[56:57] op_sel:[0,1]
.LBB2_429:                              ; =>This Inner Loop Header: Depth=1
	s_waitcnt vmcnt(0)
	flat_load_dword v7, v[0:1]
	v_add_co_u32_e32 v0, vcc, 4, v0
	v_addc_co_u32_e32 v1, vcc, 0, v1, vcc
	v_add_u32_e32 v6, -1, v6
	v_cmp_eq_u32_e32 vcc, 0, v6
	s_or_b64 s[6:7], vcc, s[6:7]
	s_waitcnt vmcnt(0) lgkmcnt(0)
	v_or_b32_e32 v7, v7, v5
	flat_store_dword v[2:3], v7
	v_add_co_u32_e32 v2, vcc, 4, v2
	v_addc_co_u32_e32 v3, vcc, 0, v3, vcc
	s_andn2_b64 exec, exec, s[6:7]
	s_cbranch_execnz .LBB2_429
; %bb.430:
	s_or_b64 exec, exec, s[6:7]
	v_mov_b32_e32 v0, v45
	s_or_b64 exec, exec, s[4:5]
	v_cmp_lt_i32_e32 vcc, 0, v43
	s_and_saveexec_b64 s[4:5], vcc
	s_cbranch_execnz .LBB2_433
.LBB2_431:
	s_or_b64 exec, exec, s[4:5]
	v_cmp_lt_i32_e32 vcc, 0, v55
	s_and_saveexec_b64 s[4:5], vcc
	s_cbranch_execnz .LBB2_436
	s_branch .LBB2_439
.LBB2_432:
	s_or_b64 exec, exec, s[4:5]
	v_cmp_lt_i32_e32 vcc, 0, v43
	s_and_saveexec_b64 s[4:5], vcc
	s_cbranch_execz .LBB2_431
.LBB2_433:
	buffer_load_dword v2, off, s[0:3], s33 offset:72
	buffer_load_dword v3, off, s[0:3], s33 offset:76
	v_mov_b32_e32 v1, 0
	v_lshlrev_b32_e64 v6, v4, 2
	v_lshlrev_b64 v[4:5], 2, v[0:1]
	v_add_co_u32_e32 v4, vcc, v56, v4
	v_addc_co_u32_e32 v5, vcc, v57, v5, vcc
	v_add_u32_e32 v0, v43, v0
	s_mov_b64 s[6:7], 0
.LBB2_434:                              ; =>This Inner Loop Header: Depth=1
	s_waitcnt vmcnt(0)
	flat_load_dword v1, v[2:3]
	v_add_co_u32_e32 v2, vcc, 4, v2
	v_add_u32_e32 v43, -1, v43
	v_addc_co_u32_e32 v3, vcc, 0, v3, vcc
	v_cmp_eq_u32_e32 vcc, 0, v43
	s_or_b64 s[6:7], vcc, s[6:7]
	s_waitcnt vmcnt(0) lgkmcnt(0)
	v_or_b32_e32 v1, v1, v6
	flat_store_dword v[4:5], v1
	v_add_co_u32_e32 v4, vcc, 4, v4
	v_addc_co_u32_e32 v5, vcc, 0, v5, vcc
	s_andn2_b64 exec, exec, s[6:7]
	s_cbranch_execnz .LBB2_434
; %bb.435:
	s_or_b64 exec, exec, s[6:7]
	s_or_b64 exec, exec, s[4:5]
	v_cmp_lt_i32_e32 vcc, 0, v55
	s_and_saveexec_b64 s[4:5], vcc
	s_cbranch_execz .LBB2_439
.LBB2_436:
	buffer_load_dword v2, off, s[0:3], s33 offset:88
	buffer_load_dword v3, off, s[0:3], s33 offset:92
	v_mov_b32_e32 v1, 0
	v_lshlrev_b64 v[4:5], 2, v[0:1]
	v_add_co_u32_e32 v4, vcc, v56, v4
	v_addc_co_u32_e32 v5, vcc, v57, v5, vcc
	v_add_u32_e32 v0, v55, v0
	s_mov_b64 s[6:7], 0
.LBB2_437:                              ; =>This Inner Loop Header: Depth=1
	s_waitcnt vmcnt(0)
	flat_load_dword v1, v[2:3]
	v_add_co_u32_e32 v2, vcc, 4, v2
	v_add_u32_e32 v55, -1, v55
	v_addc_co_u32_e32 v3, vcc, 0, v3, vcc
	v_cmp_eq_u32_e32 vcc, 0, v55
	s_or_b64 s[6:7], vcc, s[6:7]
	s_waitcnt vmcnt(0) lgkmcnt(0)
	flat_store_dword v[4:5], v1
	v_add_co_u32_e32 v4, vcc, 4, v4
	v_addc_co_u32_e32 v5, vcc, 0, v5, vcc
	s_andn2_b64 exec, exec, s[6:7]
	s_cbranch_execnz .LBB2_437
; %bb.438:
	s_or_b64 exec, exec, s[6:7]
.LBB2_439:
	s_or_b64 exec, exec, s[4:5]
	flat_load_dword v1, v[46:47] offset:4
	s_mov_b64 s[4:5], s[50:51]
	s_waitcnt vmcnt(0) lgkmcnt(0)
	v_cmp_ne_u32_e32 vcc, v0, v1
	s_and_saveexec_b64 s[6:7], vcc
	s_xor_b64 s[52:53], exec, s[6:7]
	s_cbranch_execz .LBB2_441
; %bb.440:
	s_getpc_b64 s[4:5]
	s_add_u32 s4, s4, .str.23@rel32@lo+4
	s_addc_u32 s5, s5, .str.23@rel32@hi+12
	s_getpc_b64 s[6:7]
	s_add_u32 s6, s6, .str.16@rel32@lo+4
	s_addc_u32 s7, s7, .str.16@rel32@hi+12
	s_getpc_b64 s[10:11]
	s_add_u32 s10, s10, __PRETTY_FUNCTION__._ZN3sop14minatoIsop5RecEjjiPNS_3SopEP7VecsMemIjLi8192EE@rel32@lo+4
	s_addc_u32 s11, s11, __PRETTY_FUNCTION__._ZN3sop14minatoIsop5RecEjjiPNS_3SopEP7VecsMemIjLi8192EE@rel32@hi+12
	s_mov_b64 s[8:9], s[34:35]
	v_mov_b32_e32 v0, s4
	v_mov_b32_e32 v1, s5
	;; [unrolled: 1-line block ×7, first 2 shown]
	s_getpc_b64 s[12:13]
	s_add_u32 s12, s12, __assert_fail@rel32@lo+4
	s_addc_u32 s13, s13, __assert_fail@rel32@hi+12
	s_swappc_b64 s[30:31], s[12:13]
	s_or_b64 s[4:5], s[50:51], exec
                                        ; implicit-def: $vgpr42
                                        ; implicit-def: $vgpr41
                                        ; implicit-def: $vgpr44
                                        ; implicit-def: $vgpr54
.LBB2_441:
	s_or_saveexec_b64 s[6:7], s[52:53]
	s_mov_b64 s[8:9], 0
                                        ; implicit-def: $vgpr0
	s_xor_b64 exec, exec, s[6:7]
	s_cbranch_execz .LBB2_443
; %bb.442:
	v_ashrrev_i32_e32 v43, 31, v42
	v_lshlrev_b64 v[0:1], 2, v[42:43]
	s_getpc_b64 s[10:11]
	s_add_u32 s10, s10, __const._ZN3sop14minatoIsop5RecEjjiPNS_3SopEP7VecsMemIjLi8192EE.uMasks@rel32@lo+4
	s_addc_u32 s11, s11, __const._ZN3sop14minatoIsop5RecEjjiPNS_3SopEP7VecsMemIjLi8192EE.uMasks@rel32@hi+12
	v_mov_b32_e32 v2, s11
	v_add_co_u32_e32 v0, vcc, s10, v0
	v_addc_co_u32_e32 v1, vcc, v1, v2, vcc
	global_load_dword v0, v[0:1], off
	s_mov_b64 s[8:9], exec
	s_waitcnt vmcnt(0)
	v_not_b32_e32 v1, v0
	v_and_b32_e32 v1, v41, v1
	v_and_b32_e32 v0, v0, v44
	v_or3_b32 v0, v0, v54, v1
.LBB2_443:
	s_or_b64 exec, exec, s[6:7]
	s_andn2_b64 s[6:7], s[50:51], exec
	s_and_b64 s[4:5], s[4:5], exec
	s_and_b64 s[52:53], s[8:9], exec
	s_or_b64 s[54:55], s[6:7], s[4:5]
.LBB2_444:
	s_andn2_saveexec_b64 s[28:29], s[28:29]
	s_cbranch_execz .LBB2_446
; %bb.445:
	s_getpc_b64 s[4:5]
	s_add_u32 s4, s4, .str.20@rel32@lo+4
	s_addc_u32 s5, s5, .str.20@rel32@hi+12
	s_getpc_b64 s[6:7]
	s_add_u32 s6, s6, .str.16@rel32@lo+4
	s_addc_u32 s7, s7, .str.16@rel32@hi+12
	s_getpc_b64 s[10:11]
	s_add_u32 s10, s10, __PRETTY_FUNCTION__._ZN3sop14minatoIsop5RecEjjiPNS_3SopEP7VecsMemIjLi8192EE@rel32@lo+4
	s_addc_u32 s11, s11, __PRETTY_FUNCTION__._ZN3sop14minatoIsop5RecEjjiPNS_3SopEP7VecsMemIjLi8192EE@rel32@hi+12
	s_mov_b64 s[8:9], s[34:35]
	v_mov_b32_e32 v0, s4
	v_mov_b32_e32 v1, s5
	;; [unrolled: 1-line block ×7, first 2 shown]
	s_getpc_b64 s[12:13]
	s_add_u32 s12, s12, __assert_fail@rel32@lo+4
	s_addc_u32 s13, s13, __assert_fail@rel32@hi+12
	s_swappc_b64 s[30:31], s[12:13]
	s_or_b64 s[54:55], s[54:55], exec
                                        ; implicit-def: $vgpr0
.LBB2_446:
	s_or_b64 exec, exec, s[28:29]
	s_andn2_b64 s[4:5], s[50:51], exec
	s_and_b64 s[8:9], s[54:55], exec
	s_and_b64 s[6:7], s[52:53], exec
	s_or_b64 s[50:51], s[4:5], s[8:9]
.LBB2_447:
	s_or_b64 exec, exec, s[26:27]
	s_and_b64 s[26:27], s[6:7], exec
	s_andn2_b64 s[4:5], s[46:47], exec
	s_and_b64 s[6:7], s[50:51], exec
	s_or_b64 s[46:47], s[4:5], s[6:7]
	s_or_b64 exec, exec, s[48:49]
	s_and_saveexec_b64 s[4:5], s[44:45]
	s_xor_b64 s[28:29], exec, s[4:5]
	s_cbranch_execnz .LBB2_120
	s_branch .LBB2_121
.Lfunc_end2:
	.size	_ZN3sop14minatoIsop5RecEjjiPNS_3SopEP7VecsMemIjLi8192EE, .Lfunc_end2-_ZN3sop14minatoIsop5RecEjjiPNS_3SopEP7VecsMemIjLi8192EE
                                        ; -- End function
	.section	.AMDGPU.csdata,"",@progbits
; Function info:
; codeLenInByte = 15796
; NumSgprs: 90
; NumVgprs: 61
; NumAgprs: 1
; TotalNumVgprs: 65
; ScratchSize: 176
; MemoryBound: 0
	.text
	.p2align	2                               ; -- Begin function _ZN3sop13minatoIsopRecEPKjS1_iPNS_3SopEP7VecsMemIjLi8192EE
	.type	_ZN3sop13minatoIsopRecEPKjS1_iPNS_3SopEP7VecsMemIjLi8192EE,@function
_ZN3sop13minatoIsopRecEPKjS1_iPNS_3SopEP7VecsMemIjLi8192EE: ; @_ZN3sop13minatoIsopRecEPKjS1_iPNS_3SopEP7VecsMemIjLi8192EE
; %bb.0:
	s_waitcnt vmcnt(0) expcnt(0) lgkmcnt(0)
	s_mov_b32 s4, s33
	s_mov_b32 s33, s32
	s_or_saveexec_b64 s[6:7], -1
	buffer_store_dword v63, off, s[0:3], s33 offset:136 ; 4-byte Folded Spill
	buffer_store_dword v62, off, s[0:3], s33 offset:140 ; 4-byte Folded Spill
	;; [unrolled: 1-line block ×3, first 2 shown]
	s_mov_b64 exec, s[6:7]
	v_writelane_b32 v62, s4, 4
	s_addk_i32 s32, 0x2800
	buffer_store_dword v40, off, s[0:3], s33 offset:80 ; 4-byte Folded Spill
	buffer_store_dword v41, off, s[0:3], s33 offset:76 ; 4-byte Folded Spill
	buffer_store_dword v42, off, s[0:3], s33 offset:72 ; 4-byte Folded Spill
	buffer_store_dword v43, off, s[0:3], s33 offset:68 ; 4-byte Folded Spill
	buffer_store_dword v44, off, s[0:3], s33 offset:64 ; 4-byte Folded Spill
	buffer_store_dword v45, off, s[0:3], s33 offset:60 ; 4-byte Folded Spill
	buffer_store_dword v46, off, s[0:3], s33 offset:56 ; 4-byte Folded Spill
	buffer_store_dword v47, off, s[0:3], s33 offset:52 ; 4-byte Folded Spill
	buffer_store_dword v56, off, s[0:3], s33 offset:48 ; 4-byte Folded Spill
	buffer_store_dword v57, off, s[0:3], s33 offset:44 ; 4-byte Folded Spill
	buffer_store_dword v58, off, s[0:3], s33 offset:40 ; 4-byte Folded Spill
	buffer_store_dword v59, off, s[0:3], s33 offset:36 ; 4-byte Folded Spill
	buffer_store_dword v60, off, s[0:3], s33 offset:32 ; 4-byte Folded Spill
	buffer_store_dword a32, off, s[0:3], s33 offset:28 ; 4-byte Folded Spill
	buffer_store_dword a33, off, s[0:3], s33 offset:24 ; 4-byte Folded Spill
	buffer_store_dword a34, off, s[0:3], s33 offset:20 ; 4-byte Folded Spill
	buffer_store_dword a35, off, s[0:3], s33 offset:16 ; 4-byte Folded Spill
	buffer_store_dword a36, off, s[0:3], s33 offset:12 ; 4-byte Folded Spill
	buffer_store_dword a37, off, s[0:3], s33 offset:8 ; 4-byte Folded Spill
	buffer_store_dword a38, off, s[0:3], s33 offset:4 ; 4-byte Folded Spill
	buffer_store_dword a39, off, s[0:3], s33 ; 4-byte Folded Spill
	v_writelane_b32 v63, s34, 0
	v_writelane_b32 v63, s35, 1
	;; [unrolled: 1-line block ×68, first 2 shown]
	v_mov_b32_e32 v46, v0
	v_add_u32_e32 v0, -5, v4
	v_lshlrev_b32_e64 v0, v0, 1
	v_cmp_lt_i32_e32 vcc, 5, v4
	v_cndmask_b32_e32 v42, 1, v0, vcc
	v_mov_b32_e32 v57, v8
	v_mov_b32_e32 v56, v7
	;; [unrolled: 1-line block ×7, first 2 shown]
	v_cmp_lt_i32_e32 vcc, 0, v42
	s_mov_b64 s[4:5], -1
	s_mov_b64 s[86:87], 0
	v_pk_mov_b32 v[0:1], 0, 0
	s_and_saveexec_b64 s[28:29], vcc
	s_cbranch_execnz .LBB3_5
; %bb.1:
	s_or_b64 exec, exec, s[28:29]
	s_and_saveexec_b64 s[88:89], s[4:5]
	s_cbranch_execnz .LBB3_147
.LBB3_2:
	s_or_b64 exec, exec, s[88:89]
	s_and_saveexec_b64 s[4:5], s[86:87]
.LBB3_3:
	; divergent unreachable
.LBB3_4:
	s_or_b64 exec, exec, s[4:5]
	buffer_load_dword a39, off, s[0:3], s33 ; 4-byte Folded Reload
	buffer_load_dword a38, off, s[0:3], s33 offset:4 ; 4-byte Folded Reload
	buffer_load_dword a37, off, s[0:3], s33 offset:8 ; 4-byte Folded Reload
	;; [unrolled: 1-line block ×20, first 2 shown]
	v_readlane_b32 s30, v62, 2
	v_readlane_b32 s31, v62, 3
	;; [unrolled: 1-line block ×69, first 2 shown]
	s_or_saveexec_b64 s[6:7], -1
	buffer_load_dword v63, off, s[0:3], s33 offset:136 ; 4-byte Folded Reload
	buffer_load_dword v62, off, s[0:3], s33 offset:140 ; 4-byte Folded Reload
	;; [unrolled: 1-line block ×3, first 2 shown]
	s_mov_b64 exec, s[6:7]
	s_addk_i32 s32, 0xd800
	s_mov_b32 s33, s4
	s_waitcnt vmcnt(0) lgkmcnt(0)
	s_setpc_b64 s[30:31]
.LBB3_5:
	flat_load_dword v0, v[56:57]
	v_pk_mov_b32 v[2:3], 0, 0
	s_movk_i32 s6, 0x2001
	v_accvgpr_write_b32 a0, v2
	s_mov_b64 s[4:5], 0
	v_accvgpr_write_b32 a1, v3
	s_mov_b64 s[34:35], 0
	s_waitcnt vmcnt(0) lgkmcnt(0)
	v_add_u32_e32 v0, v0, v42
	v_cmp_gt_i32_e32 vcc, s6, v0
	s_and_saveexec_b64 s[6:7], vcc
	s_xor_b64 s[6:7], exec, s[6:7]
	s_cbranch_execz .LBB3_7
; %bb.6:
	v_ashrrev_i32_e32 v1, 31, v0
	flat_store_dword v[56:57], v0
	v_lshlrev_b64 v[0:1], 2, v[0:1]
	v_add_co_u32_e32 v2, vcc, v56, v0
	v_mov_b32_e32 v43, 0
	v_addc_co_u32_e32 v3, vcc, v57, v1, vcc
	v_lshlrev_b64 v[0:1], 2, v[42:43]
	v_sub_co_u32_e32 v0, vcc, v2, v0
	v_subb_co_u32_e32 v1, vcc, v3, v1, vcc
	v_add_co_u32_e32 v0, vcc, 4, v0
	v_addc_co_u32_e32 v1, vcc, 0, v1, vcc
	v_accvgpr_write_b32 a0, v0
	s_mov_b64 s[34:35], exec
	v_accvgpr_write_b32 a1, v1
.LBB3_7:
	s_andn2_saveexec_b64 s[36:37], s[6:7]
	s_cbranch_execz .LBB3_146
; %bb.8:
	s_load_dwordx2 s[6:7], s[8:9], 0x50
	v_mbcnt_lo_u32_b32 v0, -1, 0
	v_mbcnt_hi_u32_b32 v33, -1, v0
	v_readfirstlane_b32 s4, v33
	v_cmp_eq_u32_e64 s[4:5], s4, v33
	v_pk_mov_b32 v[8:9], 0, 0
	s_and_saveexec_b64 s[10:11], s[4:5]
	s_cbranch_execz .LBB3_14
; %bb.9:
	v_mov_b32_e32 v0, 0
	s_waitcnt lgkmcnt(0)
	global_load_dwordx2 v[10:11], v0, s[6:7] offset:24 glc
	s_waitcnt vmcnt(0)
	buffer_invl2
	buffer_wbinvl1_vol
	global_load_dwordx2 v[2:3], v0, s[6:7] offset:40
	global_load_dwordx2 v[6:7], v0, s[6:7]
	s_waitcnt vmcnt(1)
	v_and_b32_e32 v1, v2, v10
	v_and_b32_e32 v2, v3, v11
	v_mul_lo_u32 v2, v2, 24
	v_mul_hi_u32 v3, v1, 24
	v_mul_lo_u32 v1, v1, 24
	v_add_u32_e32 v3, v3, v2
	s_waitcnt vmcnt(0)
	v_add_co_u32_e32 v2, vcc, v6, v1
	v_addc_co_u32_e32 v3, vcc, v7, v3, vcc
	global_load_dwordx2 v[8:9], v[2:3], off glc
	s_waitcnt vmcnt(0)
	global_atomic_cmpswap_x2 v[8:9], v0, v[8:11], s[6:7] offset:24 glc
	s_waitcnt vmcnt(0)
	buffer_invl2
	buffer_wbinvl1_vol
	v_cmp_ne_u64_e32 vcc, v[8:9], v[10:11]
	s_and_saveexec_b64 s[12:13], vcc
	s_cbranch_execz .LBB3_13
; %bb.10:
	s_mov_b64 s[14:15], 0
.LBB3_11:                               ; =>This Inner Loop Header: Depth=1
	s_sleep 1
	global_load_dwordx2 v[2:3], v0, s[6:7] offset:40
	global_load_dwordx2 v[6:7], v0, s[6:7]
	v_pk_mov_b32 v[10:11], v[8:9], v[8:9] op_sel:[0,1]
	s_waitcnt vmcnt(1)
	v_and_b32_e32 v2, v2, v10
	v_and_b32_e32 v1, v3, v11
	s_waitcnt vmcnt(0)
	v_mad_u64_u32 v[2:3], s[16:17], v2, 24, v[6:7]
	v_mov_b32_e32 v6, v3
	v_mad_u64_u32 v[6:7], s[16:17], v1, 24, v[6:7]
	v_mov_b32_e32 v3, v6
	global_load_dwordx2 v[8:9], v[2:3], off glc
	s_waitcnt vmcnt(0)
	global_atomic_cmpswap_x2 v[8:9], v0, v[8:11], s[6:7] offset:24 glc
	s_waitcnt vmcnt(0)
	buffer_invl2
	buffer_wbinvl1_vol
	v_cmp_eq_u64_e32 vcc, v[8:9], v[10:11]
	s_or_b64 s[14:15], vcc, s[14:15]
	s_andn2_b64 exec, exec, s[14:15]
	s_cbranch_execnz .LBB3_11
; %bb.12:
	s_or_b64 exec, exec, s[14:15]
.LBB3_13:
	s_or_b64 exec, exec, s[12:13]
.LBB3_14:
	s_or_b64 exec, exec, s[10:11]
	v_mov_b32_e32 v7, 0
	s_waitcnt lgkmcnt(0)
	global_load_dwordx2 v[10:11], v7, s[6:7] offset:40
	global_load_dwordx4 v[0:3], v7, s[6:7]
	v_readfirstlane_b32 s10, v8
	v_readfirstlane_b32 s11, v9
	s_mov_b64 s[12:13], exec
	s_waitcnt vmcnt(0)
	v_readfirstlane_b32 s14, v10
	v_readfirstlane_b32 s15, v11
	s_and_b64 s[14:15], s[10:11], s[14:15]
	s_mul_i32 s16, s15, 24
	s_mul_hi_u32 s17, s14, 24
	s_mul_i32 s18, s14, 24
	s_add_i32 s16, s17, s16
	v_mov_b32_e32 v5, s16
	v_add_co_u32_e32 v10, vcc, s18, v0
	v_addc_co_u32_e32 v11, vcc, v1, v5, vcc
	s_and_saveexec_b64 s[16:17], s[4:5]
	s_cbranch_execz .LBB3_16
; %bb.15:
	v_pk_mov_b32 v[12:13], s[12:13], s[12:13] op_sel:[0,1]
	v_mov_b32_e32 v14, 2
	v_mov_b32_e32 v15, 1
	global_store_dwordx4 v[10:11], v[12:15], off offset:8
.LBB3_16:
	s_or_b64 exec, exec, s[16:17]
	s_lshl_b64 s[12:13], s[14:15], 12
	v_mov_b32_e32 v5, s13
	v_add_co_u32_e32 v2, vcc, s12, v2
	v_addc_co_u32_e32 v3, vcc, v3, v5, vcc
	s_mov_b32 s12, 0
	v_lshlrev_b32_e32 v32, 6, v33
	v_mov_b32_e32 v6, 33
	v_mov_b32_e32 v8, v7
	;; [unrolled: 1-line block ×3, first 2 shown]
	v_readfirstlane_b32 s16, v2
	v_readfirstlane_b32 s17, v3
	s_mov_b32 s13, s12
	v_add_co_u32_e32 v12, vcc, v2, v32
	s_mov_b32 s14, s12
	s_mov_b32 s15, s12
	s_nop 0
	global_store_dwordx4 v32, v[6:9], s[16:17]
	v_addc_co_u32_e32 v13, vcc, 0, v3, vcc
	v_pk_mov_b32 v[6:7], s[12:13], s[12:13] op_sel:[0,1]
	v_pk_mov_b32 v[8:9], s[14:15], s[14:15] op_sel:[0,1]
	global_store_dwordx4 v32, v[6:9], s[16:17] offset:16
	global_store_dwordx4 v32, v[6:9], s[16:17] offset:32
	;; [unrolled: 1-line block ×3, first 2 shown]
	s_and_saveexec_b64 s[12:13], s[4:5]
	s_cbranch_execz .LBB3_24
; %bb.17:
	v_mov_b32_e32 v5, 0
	global_load_dwordx2 v[16:17], v5, s[6:7] offset:32 glc
	global_load_dwordx2 v[2:3], v5, s[6:7] offset:40
	v_mov_b32_e32 v14, s10
	v_mov_b32_e32 v15, s11
	s_waitcnt vmcnt(0)
	v_and_b32_e32 v2, s10, v2
	v_and_b32_e32 v3, s11, v3
	v_mul_lo_u32 v3, v3, 24
	v_mul_hi_u32 v6, v2, 24
	v_mul_lo_u32 v2, v2, 24
	v_add_u32_e32 v3, v6, v3
	v_add_co_u32_e32 v6, vcc, v0, v2
	v_addc_co_u32_e32 v7, vcc, v1, v3, vcc
	global_store_dwordx2 v[6:7], v[16:17], off
	buffer_wbl2
	s_waitcnt vmcnt(0)
	global_atomic_cmpswap_x2 v[2:3], v5, v[14:17], s[6:7] offset:32 glc
	s_waitcnt vmcnt(0)
	v_cmp_ne_u64_e32 vcc, v[2:3], v[16:17]
	s_and_saveexec_b64 s[14:15], vcc
	s_cbranch_execz .LBB3_20
; %bb.18:
	s_mov_b64 s[16:17], 0
.LBB3_19:                               ; =>This Inner Loop Header: Depth=1
	s_sleep 1
	global_store_dwordx2 v[6:7], v[2:3], off
	v_mov_b32_e32 v0, s10
	v_mov_b32_e32 v1, s11
	buffer_wbl2
	s_waitcnt vmcnt(0)
	global_atomic_cmpswap_x2 v[0:1], v5, v[0:3], s[6:7] offset:32 glc
	s_waitcnt vmcnt(0)
	v_cmp_eq_u64_e32 vcc, v[0:1], v[2:3]
	s_or_b64 s[16:17], vcc, s[16:17]
	v_pk_mov_b32 v[2:3], v[0:1], v[0:1] op_sel:[0,1]
	s_andn2_b64 exec, exec, s[16:17]
	s_cbranch_execnz .LBB3_19
.LBB3_20:
	s_or_b64 exec, exec, s[14:15]
	v_mov_b32_e32 v3, 0
	global_load_dwordx2 v[0:1], v3, s[6:7] offset:16
	s_mov_b64 s[14:15], exec
	v_mbcnt_lo_u32_b32 v2, s14, 0
	v_mbcnt_hi_u32_b32 v2, s15, v2
	v_cmp_eq_u32_e32 vcc, 0, v2
	s_and_saveexec_b64 s[16:17], vcc
	s_cbranch_execz .LBB3_22
; %bb.21:
	s_bcnt1_i32_b64 s14, s[14:15]
	v_mov_b32_e32 v2, s14
	buffer_wbl2
	s_waitcnt vmcnt(0)
	global_atomic_add_x2 v[0:1], v[2:3], off offset:8
.LBB3_22:
	s_or_b64 exec, exec, s[16:17]
	s_waitcnt vmcnt(0)
	global_load_dwordx2 v[2:3], v[0:1], off offset:16
	s_waitcnt vmcnt(0)
	v_cmp_eq_u64_e32 vcc, 0, v[2:3]
	s_cbranch_vccnz .LBB3_24
; %bb.23:
	global_load_dword v0, v[0:1], off offset:24
	v_mov_b32_e32 v1, 0
	buffer_wbl2
	s_waitcnt vmcnt(0)
	global_store_dwordx2 v[2:3], v[0:1], off
	v_and_b32_e32 v0, 0xffffff, v0
	v_readfirstlane_b32 m0, v0
	s_sendmsg sendmsg(MSG_INTERRUPT)
.LBB3_24:
	s_or_b64 exec, exec, s[12:13]
	s_branch .LBB3_28
.LBB3_25:                               ;   in Loop: Header=BB3_28 Depth=1
	s_or_b64 exec, exec, s[12:13]
	v_readfirstlane_b32 s12, v0
	s_cmp_eq_u32 s12, 0
	s_cbranch_scc1 .LBB3_27
; %bb.26:                               ;   in Loop: Header=BB3_28 Depth=1
	s_sleep 1
	s_cbranch_execnz .LBB3_28
	s_branch .LBB3_30
.LBB3_27:
	s_branch .LBB3_30
.LBB3_28:                               ; =>This Inner Loop Header: Depth=1
	v_mov_b32_e32 v0, 1
	s_and_saveexec_b64 s[12:13], s[4:5]
	s_cbranch_execz .LBB3_25
; %bb.29:                               ;   in Loop: Header=BB3_28 Depth=1
	global_load_dword v0, v[10:11], off offset:20 glc
	s_waitcnt vmcnt(0)
	buffer_invl2
	buffer_wbinvl1_vol
	v_and_b32_e32 v0, 1, v0
	s_branch .LBB3_25
.LBB3_30:
	global_load_dwordx2 v[0:1], v[12:13], off
	s_and_saveexec_b64 s[12:13], s[4:5]
	s_cbranch_execz .LBB3_33
; %bb.31:
	v_mov_b32_e32 v5, 0
	global_load_dwordx2 v[2:3], v5, s[6:7] offset:40
	global_load_dwordx2 v[10:11], v5, s[6:7] offset:24 glc
	global_load_dwordx2 v[12:13], v5, s[6:7]
	v_mov_b32_e32 v7, s11
	s_mov_b64 s[4:5], 0
	s_waitcnt vmcnt(2)
	v_add_co_u32_e32 v9, vcc, 1, v2
	v_addc_co_u32_e32 v14, vcc, 0, v3, vcc
	v_add_co_u32_e32 v6, vcc, s10, v9
	v_addc_co_u32_e32 v7, vcc, v14, v7, vcc
	v_cmp_eq_u64_e32 vcc, 0, v[6:7]
	v_cndmask_b32_e32 v7, v7, v14, vcc
	v_cndmask_b32_e32 v6, v6, v9, vcc
	v_and_b32_e32 v3, v7, v3
	v_and_b32_e32 v2, v6, v2
	v_mul_lo_u32 v3, v3, 24
	v_mul_hi_u32 v9, v2, 24
	v_mul_lo_u32 v2, v2, 24
	v_add_u32_e32 v3, v9, v3
	s_waitcnt vmcnt(0)
	v_add_co_u32_e32 v2, vcc, v12, v2
	v_addc_co_u32_e32 v3, vcc, v13, v3, vcc
	v_mov_b32_e32 v8, v10
	global_store_dwordx2 v[2:3], v[10:11], off
	v_mov_b32_e32 v9, v11
	buffer_wbl2
	s_waitcnt vmcnt(0)
	global_atomic_cmpswap_x2 v[8:9], v5, v[6:9], s[6:7] offset:24 glc
	s_waitcnt vmcnt(0)
	v_cmp_ne_u64_e32 vcc, v[8:9], v[10:11]
	s_and_b64 exec, exec, vcc
	s_cbranch_execz .LBB3_33
.LBB3_32:                               ; =>This Inner Loop Header: Depth=1
	s_sleep 1
	global_store_dwordx2 v[2:3], v[8:9], off
	buffer_wbl2
	s_waitcnt vmcnt(0)
	global_atomic_cmpswap_x2 v[10:11], v5, v[6:9], s[6:7] offset:24 glc
	s_waitcnt vmcnt(0)
	v_cmp_eq_u64_e32 vcc, v[10:11], v[8:9]
	s_or_b64 s[4:5], vcc, s[4:5]
	v_pk_mov_b32 v[8:9], v[10:11], v[10:11] op_sel:[0,1]
	s_andn2_b64 exec, exec, s[4:5]
	s_cbranch_execnz .LBB3_32
.LBB3_33:
	s_or_b64 exec, exec, s[12:13]
	s_getpc_b64 s[10:11]
	s_add_u32 s10, s10, .str.28@rel32@lo+4
	s_addc_u32 s11, s11, .str.28@rel32@hi+12
	s_cmp_lg_u64 s[10:11], 0
	s_cbranch_scc0 .LBB3_118
; %bb.34:
	s_waitcnt vmcnt(0)
	v_and_b32_e32 v10, -3, v0
	v_mov_b32_e32 v11, v1
	s_mov_b64 s[12:13], 35
	v_mov_b32_e32 v3, 0
	v_mov_b32_e32 v8, 2
	;; [unrolled: 1-line block ×3, first 2 shown]
	s_branch .LBB3_36
.LBB3_35:                               ;   in Loop: Header=BB3_36 Depth=1
	s_or_b64 exec, exec, s[18:19]
	s_sub_u32 s12, s12, s14
	s_subb_u32 s13, s13, s15
	s_add_u32 s10, s10, s14
	s_addc_u32 s11, s11, s15
	s_cmp_lg_u64 s[12:13], 0
	s_cbranch_scc0 .LBB3_117
.LBB3_36:                               ; =>This Loop Header: Depth=1
                                        ;     Child Loop BB3_39 Depth 2
                                        ;     Child Loop BB3_46 Depth 2
	;; [unrolled: 1-line block ×11, first 2 shown]
	v_cmp_lt_u64_e64 s[4:5], s[12:13], 56
	s_and_b64 s[4:5], s[4:5], exec
	v_cmp_gt_u64_e64 s[4:5], s[12:13], 7
	s_cselect_b32 s15, s13, 0
	s_cselect_b32 s14, s12, 56
	s_and_b64 vcc, exec, s[4:5]
	s_cbranch_vccnz .LBB3_41
; %bb.37:                               ;   in Loop: Header=BB3_36 Depth=1
	s_mov_b64 s[4:5], 0
	s_cmp_eq_u64 s[12:13], 0
	s_waitcnt vmcnt(0)
	v_pk_mov_b32 v[12:13], 0, 0
	s_cbranch_scc1 .LBB3_40
; %bb.38:                               ;   in Loop: Header=BB3_36 Depth=1
	s_lshl_b64 s[16:17], s[14:15], 3
	s_mov_b64 s[18:19], 0
	v_pk_mov_b32 v[12:13], 0, 0
	s_mov_b64 s[20:21], s[10:11]
.LBB3_39:                               ;   Parent Loop BB3_36 Depth=1
                                        ; =>  This Inner Loop Header: Depth=2
	global_load_ubyte v2, v3, s[20:21]
	s_waitcnt vmcnt(0)
	v_and_b32_e32 v2, 0xffff, v2
	v_lshlrev_b64 v[6:7], s18, v[2:3]
	s_add_u32 s18, s18, 8
	s_addc_u32 s19, s19, 0
	s_add_u32 s20, s20, 1
	s_addc_u32 s21, s21, 0
	v_or_b32_e32 v12, v6, v12
	s_cmp_lg_u32 s16, s18
	v_or_b32_e32 v13, v7, v13
	s_cbranch_scc1 .LBB3_39
.LBB3_40:                               ;   in Loop: Header=BB3_36 Depth=1
	s_mov_b32 s20, 0
	s_andn2_b64 vcc, exec, s[4:5]
	s_mov_b64 s[4:5], s[10:11]
	s_cbranch_vccz .LBB3_42
	s_branch .LBB3_43
.LBB3_41:                               ;   in Loop: Header=BB3_36 Depth=1
                                        ; implicit-def: $sgpr20
	s_mov_b64 s[4:5], s[10:11]
.LBB3_42:                               ;   in Loop: Header=BB3_36 Depth=1
	global_load_dwordx2 v[12:13], v3, s[10:11]
	s_add_i32 s20, s14, -8
	s_add_u32 s4, s10, 8
	s_addc_u32 s5, s11, 0
.LBB3_43:                               ;   in Loop: Header=BB3_36 Depth=1
	s_cmp_gt_u32 s20, 7
	s_cbranch_scc1 .LBB3_47
; %bb.44:                               ;   in Loop: Header=BB3_36 Depth=1
	s_cmp_eq_u32 s20, 0
	s_cbranch_scc1 .LBB3_48
; %bb.45:                               ;   in Loop: Header=BB3_36 Depth=1
	s_mov_b64 s[16:17], 0
	v_pk_mov_b32 v[14:15], 0, 0
	s_mov_b64 s[18:19], 0
.LBB3_46:                               ;   Parent Loop BB3_36 Depth=1
                                        ; =>  This Inner Loop Header: Depth=2
	s_add_u32 s22, s4, s18
	s_addc_u32 s23, s5, s19
	global_load_ubyte v2, v3, s[22:23]
	s_add_u32 s18, s18, 1
	s_addc_u32 s19, s19, 0
	s_waitcnt vmcnt(0)
	v_and_b32_e32 v2, 0xffff, v2
	v_lshlrev_b64 v[6:7], s16, v[2:3]
	s_add_u32 s16, s16, 8
	s_addc_u32 s17, s17, 0
	v_or_b32_e32 v14, v6, v14
	s_cmp_lg_u32 s20, s18
	v_or_b32_e32 v15, v7, v15
	s_cbranch_scc1 .LBB3_46
	s_branch .LBB3_49
.LBB3_47:                               ;   in Loop: Header=BB3_36 Depth=1
                                        ; implicit-def: $vgpr14_vgpr15
                                        ; implicit-def: $sgpr21
	s_branch .LBB3_50
.LBB3_48:                               ;   in Loop: Header=BB3_36 Depth=1
	v_pk_mov_b32 v[14:15], 0, 0
.LBB3_49:                               ;   in Loop: Header=BB3_36 Depth=1
	s_mov_b32 s21, 0
	s_cbranch_execnz .LBB3_51
.LBB3_50:                               ;   in Loop: Header=BB3_36 Depth=1
	global_load_dwordx2 v[14:15], v3, s[4:5]
	s_add_i32 s21, s20, -8
	s_add_u32 s4, s4, 8
	s_addc_u32 s5, s5, 0
.LBB3_51:                               ;   in Loop: Header=BB3_36 Depth=1
	s_cmp_gt_u32 s21, 7
	s_cbranch_scc1 .LBB3_55
; %bb.52:                               ;   in Loop: Header=BB3_36 Depth=1
	s_cmp_eq_u32 s21, 0
	s_cbranch_scc1 .LBB3_56
; %bb.53:                               ;   in Loop: Header=BB3_36 Depth=1
	s_mov_b64 s[16:17], 0
	v_pk_mov_b32 v[16:17], 0, 0
	s_mov_b64 s[18:19], 0
.LBB3_54:                               ;   Parent Loop BB3_36 Depth=1
                                        ; =>  This Inner Loop Header: Depth=2
	s_add_u32 s22, s4, s18
	s_addc_u32 s23, s5, s19
	global_load_ubyte v2, v3, s[22:23]
	s_add_u32 s18, s18, 1
	s_addc_u32 s19, s19, 0
	s_waitcnt vmcnt(0)
	v_and_b32_e32 v2, 0xffff, v2
	v_lshlrev_b64 v[6:7], s16, v[2:3]
	s_add_u32 s16, s16, 8
	s_addc_u32 s17, s17, 0
	v_or_b32_e32 v16, v6, v16
	s_cmp_lg_u32 s21, s18
	v_or_b32_e32 v17, v7, v17
	s_cbranch_scc1 .LBB3_54
	s_branch .LBB3_57
.LBB3_55:                               ;   in Loop: Header=BB3_36 Depth=1
                                        ; implicit-def: $sgpr20
	s_branch .LBB3_58
.LBB3_56:                               ;   in Loop: Header=BB3_36 Depth=1
	v_pk_mov_b32 v[16:17], 0, 0
.LBB3_57:                               ;   in Loop: Header=BB3_36 Depth=1
	s_mov_b32 s20, 0
	s_cbranch_execnz .LBB3_59
.LBB3_58:                               ;   in Loop: Header=BB3_36 Depth=1
	global_load_dwordx2 v[16:17], v3, s[4:5]
	s_add_i32 s20, s21, -8
	s_add_u32 s4, s4, 8
	s_addc_u32 s5, s5, 0
.LBB3_59:                               ;   in Loop: Header=BB3_36 Depth=1
	s_cmp_gt_u32 s20, 7
	s_cbranch_scc1 .LBB3_63
; %bb.60:                               ;   in Loop: Header=BB3_36 Depth=1
	s_cmp_eq_u32 s20, 0
	s_cbranch_scc1 .LBB3_64
; %bb.61:                               ;   in Loop: Header=BB3_36 Depth=1
	s_mov_b64 s[16:17], 0
	v_pk_mov_b32 v[18:19], 0, 0
	s_mov_b64 s[18:19], 0
.LBB3_62:                               ;   Parent Loop BB3_36 Depth=1
                                        ; =>  This Inner Loop Header: Depth=2
	s_add_u32 s22, s4, s18
	s_addc_u32 s23, s5, s19
	global_load_ubyte v2, v3, s[22:23]
	s_add_u32 s18, s18, 1
	s_addc_u32 s19, s19, 0
	s_waitcnt vmcnt(0)
	v_and_b32_e32 v2, 0xffff, v2
	v_lshlrev_b64 v[6:7], s16, v[2:3]
	s_add_u32 s16, s16, 8
	s_addc_u32 s17, s17, 0
	v_or_b32_e32 v18, v6, v18
	s_cmp_lg_u32 s20, s18
	v_or_b32_e32 v19, v7, v19
	s_cbranch_scc1 .LBB3_62
	s_branch .LBB3_65
.LBB3_63:                               ;   in Loop: Header=BB3_36 Depth=1
                                        ; implicit-def: $vgpr18_vgpr19
                                        ; implicit-def: $sgpr21
	s_branch .LBB3_66
.LBB3_64:                               ;   in Loop: Header=BB3_36 Depth=1
	v_pk_mov_b32 v[18:19], 0, 0
.LBB3_65:                               ;   in Loop: Header=BB3_36 Depth=1
	s_mov_b32 s21, 0
	s_cbranch_execnz .LBB3_67
.LBB3_66:                               ;   in Loop: Header=BB3_36 Depth=1
	global_load_dwordx2 v[18:19], v3, s[4:5]
	s_add_i32 s21, s20, -8
	s_add_u32 s4, s4, 8
	s_addc_u32 s5, s5, 0
.LBB3_67:                               ;   in Loop: Header=BB3_36 Depth=1
	s_cmp_gt_u32 s21, 7
	s_cbranch_scc1 .LBB3_71
; %bb.68:                               ;   in Loop: Header=BB3_36 Depth=1
	s_cmp_eq_u32 s21, 0
	s_cbranch_scc1 .LBB3_72
; %bb.69:                               ;   in Loop: Header=BB3_36 Depth=1
	s_mov_b64 s[16:17], 0
	v_pk_mov_b32 v[20:21], 0, 0
	s_mov_b64 s[18:19], 0
.LBB3_70:                               ;   Parent Loop BB3_36 Depth=1
                                        ; =>  This Inner Loop Header: Depth=2
	s_add_u32 s22, s4, s18
	s_addc_u32 s23, s5, s19
	global_load_ubyte v2, v3, s[22:23]
	s_add_u32 s18, s18, 1
	s_addc_u32 s19, s19, 0
	s_waitcnt vmcnt(0)
	v_and_b32_e32 v2, 0xffff, v2
	v_lshlrev_b64 v[6:7], s16, v[2:3]
	s_add_u32 s16, s16, 8
	s_addc_u32 s17, s17, 0
	v_or_b32_e32 v20, v6, v20
	s_cmp_lg_u32 s21, s18
	v_or_b32_e32 v21, v7, v21
	s_cbranch_scc1 .LBB3_70
	s_branch .LBB3_73
.LBB3_71:                               ;   in Loop: Header=BB3_36 Depth=1
                                        ; implicit-def: $sgpr20
	s_branch .LBB3_74
.LBB3_72:                               ;   in Loop: Header=BB3_36 Depth=1
	v_pk_mov_b32 v[20:21], 0, 0
.LBB3_73:                               ;   in Loop: Header=BB3_36 Depth=1
	s_mov_b32 s20, 0
	s_cbranch_execnz .LBB3_75
.LBB3_74:                               ;   in Loop: Header=BB3_36 Depth=1
	global_load_dwordx2 v[20:21], v3, s[4:5]
	s_add_i32 s20, s21, -8
	s_add_u32 s4, s4, 8
	s_addc_u32 s5, s5, 0
.LBB3_75:                               ;   in Loop: Header=BB3_36 Depth=1
	s_cmp_gt_u32 s20, 7
	s_cbranch_scc1 .LBB3_79
; %bb.76:                               ;   in Loop: Header=BB3_36 Depth=1
	s_cmp_eq_u32 s20, 0
	s_cbranch_scc1 .LBB3_80
; %bb.77:                               ;   in Loop: Header=BB3_36 Depth=1
	s_mov_b64 s[16:17], 0
	v_pk_mov_b32 v[22:23], 0, 0
	s_mov_b64 s[18:19], 0
.LBB3_78:                               ;   Parent Loop BB3_36 Depth=1
                                        ; =>  This Inner Loop Header: Depth=2
	s_add_u32 s22, s4, s18
	s_addc_u32 s23, s5, s19
	global_load_ubyte v2, v3, s[22:23]
	s_add_u32 s18, s18, 1
	s_addc_u32 s19, s19, 0
	s_waitcnt vmcnt(0)
	v_and_b32_e32 v2, 0xffff, v2
	v_lshlrev_b64 v[6:7], s16, v[2:3]
	s_add_u32 s16, s16, 8
	s_addc_u32 s17, s17, 0
	v_or_b32_e32 v22, v6, v22
	s_cmp_lg_u32 s20, s18
	v_or_b32_e32 v23, v7, v23
	s_cbranch_scc1 .LBB3_78
	s_branch .LBB3_81
.LBB3_79:                               ;   in Loop: Header=BB3_36 Depth=1
                                        ; implicit-def: $vgpr22_vgpr23
                                        ; implicit-def: $sgpr21
	s_branch .LBB3_82
.LBB3_80:                               ;   in Loop: Header=BB3_36 Depth=1
	v_pk_mov_b32 v[22:23], 0, 0
.LBB3_81:                               ;   in Loop: Header=BB3_36 Depth=1
	s_mov_b32 s21, 0
	s_cbranch_execnz .LBB3_83
.LBB3_82:                               ;   in Loop: Header=BB3_36 Depth=1
	global_load_dwordx2 v[22:23], v3, s[4:5]
	s_add_i32 s21, s20, -8
	s_add_u32 s4, s4, 8
	s_addc_u32 s5, s5, 0
.LBB3_83:                               ;   in Loop: Header=BB3_36 Depth=1
	s_cmp_gt_u32 s21, 7
	s_cbranch_scc1 .LBB3_87
; %bb.84:                               ;   in Loop: Header=BB3_36 Depth=1
	s_cmp_eq_u32 s21, 0
	s_cbranch_scc1 .LBB3_88
; %bb.85:                               ;   in Loop: Header=BB3_36 Depth=1
	s_mov_b64 s[16:17], 0
	v_pk_mov_b32 v[24:25], 0, 0
	s_mov_b64 s[18:19], s[4:5]
.LBB3_86:                               ;   Parent Loop BB3_36 Depth=1
                                        ; =>  This Inner Loop Header: Depth=2
	global_load_ubyte v2, v3, s[18:19]
	s_add_i32 s21, s21, -1
	s_waitcnt vmcnt(0)
	v_and_b32_e32 v2, 0xffff, v2
	v_lshlrev_b64 v[6:7], s16, v[2:3]
	s_add_u32 s16, s16, 8
	s_addc_u32 s17, s17, 0
	s_add_u32 s18, s18, 1
	s_addc_u32 s19, s19, 0
	v_or_b32_e32 v24, v6, v24
	s_cmp_lg_u32 s21, 0
	v_or_b32_e32 v25, v7, v25
	s_cbranch_scc1 .LBB3_86
	s_branch .LBB3_89
.LBB3_87:                               ;   in Loop: Header=BB3_36 Depth=1
	s_branch .LBB3_90
.LBB3_88:                               ;   in Loop: Header=BB3_36 Depth=1
	v_pk_mov_b32 v[24:25], 0, 0
.LBB3_89:                               ;   in Loop: Header=BB3_36 Depth=1
	s_cbranch_execnz .LBB3_91
.LBB3_90:                               ;   in Loop: Header=BB3_36 Depth=1
	global_load_dwordx2 v[24:25], v3, s[4:5]
.LBB3_91:                               ;   in Loop: Header=BB3_36 Depth=1
	v_readfirstlane_b32 s4, v33
	v_cmp_eq_u32_e64 s[4:5], s4, v33
	v_pk_mov_b32 v[6:7], 0, 0
	s_and_saveexec_b64 s[16:17], s[4:5]
	s_cbranch_execz .LBB3_97
; %bb.92:                               ;   in Loop: Header=BB3_36 Depth=1
	global_load_dwordx2 v[28:29], v3, s[6:7] offset:24 glc
	s_waitcnt vmcnt(0)
	buffer_invl2
	buffer_wbinvl1_vol
	global_load_dwordx2 v[6:7], v3, s[6:7] offset:40
	global_load_dwordx2 v[26:27], v3, s[6:7]
	s_waitcnt vmcnt(1)
	v_and_b32_e32 v2, v6, v28
	v_and_b32_e32 v5, v7, v29
	v_mul_lo_u32 v5, v5, 24
	v_mul_hi_u32 v6, v2, 24
	v_mul_lo_u32 v2, v2, 24
	v_add_u32_e32 v5, v6, v5
	s_waitcnt vmcnt(0)
	v_add_co_u32_e32 v6, vcc, v26, v2
	v_addc_co_u32_e32 v7, vcc, v27, v5, vcc
	global_load_dwordx2 v[26:27], v[6:7], off glc
	s_waitcnt vmcnt(0)
	global_atomic_cmpswap_x2 v[6:7], v3, v[26:29], s[6:7] offset:24 glc
	s_waitcnt vmcnt(0)
	buffer_invl2
	buffer_wbinvl1_vol
	v_cmp_ne_u64_e32 vcc, v[6:7], v[28:29]
	s_and_saveexec_b64 s[18:19], vcc
	s_cbranch_execz .LBB3_96
; %bb.93:                               ;   in Loop: Header=BB3_36 Depth=1
	s_mov_b64 s[20:21], 0
.LBB3_94:                               ;   Parent Loop BB3_36 Depth=1
                                        ; =>  This Inner Loop Header: Depth=2
	s_sleep 1
	global_load_dwordx2 v[26:27], v3, s[6:7] offset:40
	global_load_dwordx2 v[30:31], v3, s[6:7]
	v_pk_mov_b32 v[28:29], v[6:7], v[6:7] op_sel:[0,1]
	s_waitcnt vmcnt(1)
	v_and_b32_e32 v2, v26, v28
	s_waitcnt vmcnt(0)
	v_mad_u64_u32 v[6:7], s[22:23], v2, 24, v[30:31]
	v_and_b32_e32 v5, v27, v29
	v_mov_b32_e32 v2, v7
	v_mad_u64_u32 v[26:27], s[22:23], v5, 24, v[2:3]
	v_mov_b32_e32 v7, v26
	global_load_dwordx2 v[26:27], v[6:7], off glc
	s_waitcnt vmcnt(0)
	global_atomic_cmpswap_x2 v[6:7], v3, v[26:29], s[6:7] offset:24 glc
	s_waitcnt vmcnt(0)
	buffer_invl2
	buffer_wbinvl1_vol
	v_cmp_eq_u64_e32 vcc, v[6:7], v[28:29]
	s_or_b64 s[20:21], vcc, s[20:21]
	s_andn2_b64 exec, exec, s[20:21]
	s_cbranch_execnz .LBB3_94
; %bb.95:                               ;   in Loop: Header=BB3_36 Depth=1
	s_or_b64 exec, exec, s[20:21]
.LBB3_96:                               ;   in Loop: Header=BB3_36 Depth=1
	s_or_b64 exec, exec, s[18:19]
.LBB3_97:                               ;   in Loop: Header=BB3_36 Depth=1
	s_or_b64 exec, exec, s[16:17]
	global_load_dwordx2 v[30:31], v3, s[6:7] offset:40
	global_load_dwordx4 v[26:29], v3, s[6:7]
	v_readfirstlane_b32 s16, v6
	v_readfirstlane_b32 s17, v7
	s_mov_b64 s[18:19], exec
	s_waitcnt vmcnt(1)
	v_readfirstlane_b32 s20, v30
	v_readfirstlane_b32 s21, v31
	s_and_b64 s[20:21], s[16:17], s[20:21]
	s_mul_i32 s22, s21, 24
	s_mul_hi_u32 s23, s20, 24
	s_mul_i32 s24, s20, 24
	s_add_i32 s22, s23, s22
	v_mov_b32_e32 v2, s22
	s_waitcnt vmcnt(0)
	v_add_co_u32_e32 v30, vcc, s24, v26
	v_addc_co_u32_e32 v31, vcc, v27, v2, vcc
	s_and_saveexec_b64 s[22:23], s[4:5]
	s_cbranch_execz .LBB3_99
; %bb.98:                               ;   in Loop: Header=BB3_36 Depth=1
	v_pk_mov_b32 v[6:7], s[18:19], s[18:19] op_sel:[0,1]
	global_store_dwordx4 v[30:31], v[6:9], off offset:8
.LBB3_99:                               ;   in Loop: Header=BB3_36 Depth=1
	s_or_b64 exec, exec, s[22:23]
	s_lshl_b64 s[18:19], s[20:21], 12
	v_mov_b32_e32 v2, s19
	v_add_co_u32_e32 v6, vcc, s18, v28
	v_addc_co_u32_e32 v5, vcc, v29, v2, vcc
	v_or_b32_e32 v2, 2, v10
	v_cmp_gt_u64_e64 vcc, s[12:13], 56
	s_lshl_b32 s18, s14, 2
	v_cndmask_b32_e32 v2, v2, v10, vcc
	s_add_i32 s18, s18, 28
	s_and_b32 s18, s18, 0x1e0
	v_and_b32_e32 v2, 0xffffff1f, v2
	v_or_b32_e32 v10, s18, v2
	v_readfirstlane_b32 s18, v6
	v_readfirstlane_b32 s19, v5
	s_nop 4
	global_store_dwordx4 v32, v[10:13], s[18:19]
	global_store_dwordx4 v32, v[14:17], s[18:19] offset:16
	global_store_dwordx4 v32, v[18:21], s[18:19] offset:32
	;; [unrolled: 1-line block ×3, first 2 shown]
	s_and_saveexec_b64 s[18:19], s[4:5]
	s_cbranch_execz .LBB3_107
; %bb.100:                              ;   in Loop: Header=BB3_36 Depth=1
	global_load_dwordx2 v[18:19], v3, s[6:7] offset:32 glc
	global_load_dwordx2 v[10:11], v3, s[6:7] offset:40
	v_mov_b32_e32 v16, s16
	v_mov_b32_e32 v17, s17
	s_waitcnt vmcnt(0)
	v_readfirstlane_b32 s20, v10
	v_readfirstlane_b32 s21, v11
	s_and_b64 s[20:21], s[20:21], s[16:17]
	s_mul_i32 s21, s21, 24
	s_mul_hi_u32 s22, s20, 24
	s_mul_i32 s20, s20, 24
	s_add_i32 s21, s22, s21
	v_mov_b32_e32 v2, s21
	v_add_co_u32_e32 v14, vcc, s20, v26
	v_addc_co_u32_e32 v15, vcc, v27, v2, vcc
	global_store_dwordx2 v[14:15], v[18:19], off
	buffer_wbl2
	s_waitcnt vmcnt(0)
	global_atomic_cmpswap_x2 v[12:13], v3, v[16:19], s[6:7] offset:32 glc
	s_waitcnt vmcnt(0)
	v_cmp_ne_u64_e32 vcc, v[12:13], v[18:19]
	s_and_saveexec_b64 s[20:21], vcc
	s_cbranch_execz .LBB3_103
; %bb.101:                              ;   in Loop: Header=BB3_36 Depth=1
	s_mov_b64 s[22:23], 0
.LBB3_102:                              ;   Parent Loop BB3_36 Depth=1
                                        ; =>  This Inner Loop Header: Depth=2
	s_sleep 1
	global_store_dwordx2 v[14:15], v[12:13], off
	v_mov_b32_e32 v10, s16
	v_mov_b32_e32 v11, s17
	buffer_wbl2
	s_waitcnt vmcnt(0)
	global_atomic_cmpswap_x2 v[10:11], v3, v[10:13], s[6:7] offset:32 glc
	s_waitcnt vmcnt(0)
	v_cmp_eq_u64_e32 vcc, v[10:11], v[12:13]
	s_or_b64 s[22:23], vcc, s[22:23]
	v_pk_mov_b32 v[12:13], v[10:11], v[10:11] op_sel:[0,1]
	s_andn2_b64 exec, exec, s[22:23]
	s_cbranch_execnz .LBB3_102
.LBB3_103:                              ;   in Loop: Header=BB3_36 Depth=1
	s_or_b64 exec, exec, s[20:21]
	global_load_dwordx2 v[10:11], v3, s[6:7] offset:16
	s_mov_b64 s[22:23], exec
	v_mbcnt_lo_u32_b32 v2, s22, 0
	v_mbcnt_hi_u32_b32 v2, s23, v2
	v_cmp_eq_u32_e32 vcc, 0, v2
	s_and_saveexec_b64 s[20:21], vcc
	s_cbranch_execz .LBB3_105
; %bb.104:                              ;   in Loop: Header=BB3_36 Depth=1
	s_bcnt1_i32_b64 s22, s[22:23]
	v_mov_b32_e32 v2, s22
	buffer_wbl2
	s_waitcnt vmcnt(0)
	global_atomic_add_x2 v[10:11], v[2:3], off offset:8
.LBB3_105:                              ;   in Loop: Header=BB3_36 Depth=1
	s_or_b64 exec, exec, s[20:21]
	s_waitcnt vmcnt(0)
	global_load_dwordx2 v[12:13], v[10:11], off offset:16
	s_waitcnt vmcnt(0)
	v_cmp_eq_u64_e32 vcc, 0, v[12:13]
	s_cbranch_vccnz .LBB3_107
; %bb.106:                              ;   in Loop: Header=BB3_36 Depth=1
	global_load_dword v2, v[10:11], off offset:24
	buffer_wbl2
	s_waitcnt vmcnt(0)
	global_store_dwordx2 v[12:13], v[2:3], off
	v_and_b32_e32 v2, 0xffffff, v2
	v_readfirstlane_b32 m0, v2
	s_sendmsg sendmsg(MSG_INTERRUPT)
.LBB3_107:                              ;   in Loop: Header=BB3_36 Depth=1
	s_or_b64 exec, exec, s[18:19]
	v_add_co_u32_e32 v6, vcc, v6, v32
	v_addc_co_u32_e32 v7, vcc, 0, v5, vcc
	s_branch .LBB3_111
.LBB3_108:                              ;   in Loop: Header=BB3_111 Depth=2
	s_or_b64 exec, exec, s[18:19]
	v_readfirstlane_b32 s18, v2
	s_cmp_eq_u32 s18, 0
	s_cbranch_scc1 .LBB3_110
; %bb.109:                              ;   in Loop: Header=BB3_111 Depth=2
	s_sleep 1
	s_cbranch_execnz .LBB3_111
	s_branch .LBB3_113
.LBB3_110:                              ;   in Loop: Header=BB3_36 Depth=1
	s_branch .LBB3_113
.LBB3_111:                              ;   Parent Loop BB3_36 Depth=1
                                        ; =>  This Inner Loop Header: Depth=2
	v_mov_b32_e32 v2, 1
	s_and_saveexec_b64 s[18:19], s[4:5]
	s_cbranch_execz .LBB3_108
; %bb.112:                              ;   in Loop: Header=BB3_111 Depth=2
	global_load_dword v2, v[30:31], off offset:20 glc
	s_waitcnt vmcnt(0)
	buffer_invl2
	buffer_wbinvl1_vol
	v_and_b32_e32 v2, 1, v2
	s_branch .LBB3_108
.LBB3_113:                              ;   in Loop: Header=BB3_36 Depth=1
	global_load_dwordx4 v[10:13], v[6:7], off
	s_and_saveexec_b64 s[18:19], s[4:5]
	s_cbranch_execz .LBB3_35
; %bb.114:                              ;   in Loop: Header=BB3_36 Depth=1
	global_load_dwordx2 v[6:7], v3, s[6:7] offset:40
	global_load_dwordx2 v[16:17], v3, s[6:7] offset:24 glc
	global_load_dwordx2 v[18:19], v3, s[6:7]
	v_mov_b32_e32 v2, s17
	s_waitcnt vmcnt(2)
	v_add_co_u32_e32 v5, vcc, 1, v6
	v_addc_co_u32_e32 v15, vcc, 0, v7, vcc
	v_add_co_u32_e32 v12, vcc, s16, v5
	v_addc_co_u32_e32 v13, vcc, v15, v2, vcc
	v_cmp_eq_u64_e32 vcc, 0, v[12:13]
	v_cndmask_b32_e32 v13, v13, v15, vcc
	v_cndmask_b32_e32 v12, v12, v5, vcc
	v_and_b32_e32 v2, v13, v7
	v_and_b32_e32 v5, v12, v6
	v_mul_lo_u32 v2, v2, 24
	v_mul_hi_u32 v6, v5, 24
	v_mul_lo_u32 v5, v5, 24
	v_add_u32_e32 v2, v6, v2
	s_waitcnt vmcnt(0)
	v_add_co_u32_e32 v6, vcc, v18, v5
	v_addc_co_u32_e32 v7, vcc, v19, v2, vcc
	v_mov_b32_e32 v14, v16
	global_store_dwordx2 v[6:7], v[16:17], off
	v_mov_b32_e32 v15, v17
	buffer_wbl2
	s_waitcnt vmcnt(0)
	global_atomic_cmpswap_x2 v[14:15], v3, v[12:15], s[6:7] offset:24 glc
	s_waitcnt vmcnt(0)
	v_cmp_ne_u64_e32 vcc, v[14:15], v[16:17]
	s_and_b64 exec, exec, vcc
	s_cbranch_execz .LBB3_35
; %bb.115:                              ;   in Loop: Header=BB3_36 Depth=1
	s_mov_b64 s[4:5], 0
.LBB3_116:                              ;   Parent Loop BB3_36 Depth=1
                                        ; =>  This Inner Loop Header: Depth=2
	s_sleep 1
	global_store_dwordx2 v[6:7], v[14:15], off
	buffer_wbl2
	s_waitcnt vmcnt(0)
	global_atomic_cmpswap_x2 v[16:17], v3, v[12:15], s[6:7] offset:24 glc
	s_waitcnt vmcnt(0)
	v_cmp_eq_u64_e32 vcc, v[16:17], v[14:15]
	s_or_b64 s[4:5], vcc, s[4:5]
	v_pk_mov_b32 v[14:15], v[16:17], v[16:17] op_sel:[0,1]
	s_andn2_b64 exec, exec, s[4:5]
	s_cbranch_execnz .LBB3_116
	s_branch .LBB3_35
.LBB3_117:
	v_mov_b32_e32 v54, v4
	s_branch .LBB3_145
.LBB3_118:
	v_mov_b32_e32 v54, v4
	s_cbranch_execz .LBB3_145
; %bb.119:
	v_readfirstlane_b32 s4, v33
	v_cmp_eq_u32_e64 s[4:5], s4, v33
	v_pk_mov_b32 v[8:9], 0, 0
	s_and_saveexec_b64 s[10:11], s[4:5]
	s_cbranch_execz .LBB3_125
; %bb.120:
	v_mov_b32_e32 v2, 0
	global_load_dwordx2 v[6:7], v2, s[6:7] offset:24 glc
	s_waitcnt vmcnt(0)
	buffer_invl2
	buffer_wbinvl1_vol
	global_load_dwordx2 v[4:5], v2, s[6:7] offset:40
	global_load_dwordx2 v[8:9], v2, s[6:7]
	s_waitcnt vmcnt(1)
	v_and_b32_e32 v3, v4, v6
	v_and_b32_e32 v4, v5, v7
	v_mul_lo_u32 v4, v4, 24
	v_mul_hi_u32 v5, v3, 24
	v_mul_lo_u32 v3, v3, 24
	v_add_u32_e32 v5, v5, v4
	s_waitcnt vmcnt(0)
	v_add_co_u32_e32 v4, vcc, v8, v3
	v_addc_co_u32_e32 v5, vcc, v9, v5, vcc
	global_load_dwordx2 v[4:5], v[4:5], off glc
	s_waitcnt vmcnt(0)
	global_atomic_cmpswap_x2 v[8:9], v2, v[4:7], s[6:7] offset:24 glc
	s_waitcnt vmcnt(0)
	buffer_invl2
	buffer_wbinvl1_vol
	v_cmp_ne_u64_e32 vcc, v[8:9], v[6:7]
	s_and_saveexec_b64 s[12:13], vcc
	s_cbranch_execz .LBB3_124
; %bb.121:
	s_mov_b64 s[14:15], 0
.LBB3_122:                              ; =>This Inner Loop Header: Depth=1
	s_sleep 1
	global_load_dwordx2 v[4:5], v2, s[6:7] offset:40
	global_load_dwordx2 v[10:11], v2, s[6:7]
	v_pk_mov_b32 v[6:7], v[8:9], v[8:9] op_sel:[0,1]
	s_waitcnt vmcnt(1)
	v_and_b32_e32 v4, v4, v6
	v_and_b32_e32 v3, v5, v7
	s_waitcnt vmcnt(0)
	v_mad_u64_u32 v[4:5], s[16:17], v4, 24, v[10:11]
	v_mov_b32_e32 v8, v5
	v_mad_u64_u32 v[8:9], s[16:17], v3, 24, v[8:9]
	v_mov_b32_e32 v5, v8
	global_load_dwordx2 v[4:5], v[4:5], off glc
	s_waitcnt vmcnt(0)
	global_atomic_cmpswap_x2 v[8:9], v2, v[4:7], s[6:7] offset:24 glc
	s_waitcnt vmcnt(0)
	buffer_invl2
	buffer_wbinvl1_vol
	v_cmp_eq_u64_e32 vcc, v[8:9], v[6:7]
	s_or_b64 s[14:15], vcc, s[14:15]
	s_andn2_b64 exec, exec, s[14:15]
	s_cbranch_execnz .LBB3_122
; %bb.123:
	s_or_b64 exec, exec, s[14:15]
.LBB3_124:
	s_or_b64 exec, exec, s[12:13]
.LBB3_125:
	s_or_b64 exec, exec, s[10:11]
	v_mov_b32_e32 v2, 0
	global_load_dwordx2 v[10:11], v2, s[6:7] offset:40
	global_load_dwordx4 v[4:7], v2, s[6:7]
	v_readfirstlane_b32 s10, v8
	v_readfirstlane_b32 s11, v9
	s_mov_b64 s[12:13], exec
	s_waitcnt vmcnt(1)
	v_readfirstlane_b32 s14, v10
	v_readfirstlane_b32 s15, v11
	s_and_b64 s[14:15], s[10:11], s[14:15]
	s_mul_i32 s16, s15, 24
	s_mul_hi_u32 s17, s14, 24
	s_mul_i32 s18, s14, 24
	s_add_i32 s16, s17, s16
	v_mov_b32_e32 v3, s16
	s_waitcnt vmcnt(0)
	v_add_co_u32_e32 v8, vcc, s18, v4
	v_addc_co_u32_e32 v9, vcc, v5, v3, vcc
	s_and_saveexec_b64 s[16:17], s[4:5]
	s_cbranch_execz .LBB3_127
; %bb.126:
	v_pk_mov_b32 v[10:11], s[12:13], s[12:13] op_sel:[0,1]
	v_mov_b32_e32 v12, 2
	v_mov_b32_e32 v13, 1
	global_store_dwordx4 v[8:9], v[10:13], off offset:8
.LBB3_127:
	s_or_b64 exec, exec, s[16:17]
	s_lshl_b64 s[12:13], s[14:15], 12
	v_mov_b32_e32 v3, s13
	v_add_co_u32_e32 v6, vcc, s12, v6
	s_movk_i32 s12, 0xff1d
	v_addc_co_u32_e32 v7, vcc, v7, v3, vcc
	v_and_or_b32 v0, v0, s12, 34
	s_mov_b32 s12, 0
	v_mov_b32_e32 v3, v2
	v_readfirstlane_b32 s16, v6
	v_readfirstlane_b32 s17, v7
	s_mov_b32 s13, s12
	s_mov_b32 s14, s12
	;; [unrolled: 1-line block ×3, first 2 shown]
	s_nop 1
	global_store_dwordx4 v32, v[0:3], s[16:17]
	s_nop 0
	v_pk_mov_b32 v[0:1], s[12:13], s[12:13] op_sel:[0,1]
	v_pk_mov_b32 v[2:3], s[14:15], s[14:15] op_sel:[0,1]
	global_store_dwordx4 v32, v[0:3], s[16:17] offset:16
	global_store_dwordx4 v32, v[0:3], s[16:17] offset:32
	;; [unrolled: 1-line block ×3, first 2 shown]
	s_and_saveexec_b64 s[12:13], s[4:5]
	s_cbranch_execz .LBB3_135
; %bb.128:
	v_mov_b32_e32 v6, 0
	global_load_dwordx2 v[12:13], v6, s[6:7] offset:32 glc
	global_load_dwordx2 v[0:1], v6, s[6:7] offset:40
	v_mov_b32_e32 v10, s10
	v_mov_b32_e32 v11, s11
	s_waitcnt vmcnt(0)
	v_readfirstlane_b32 s14, v0
	v_readfirstlane_b32 s15, v1
	s_and_b64 s[14:15], s[14:15], s[10:11]
	s_mul_i32 s15, s15, 24
	s_mul_hi_u32 s16, s14, 24
	s_mul_i32 s14, s14, 24
	s_add_i32 s15, s16, s15
	v_mov_b32_e32 v0, s15
	v_add_co_u32_e32 v4, vcc, s14, v4
	v_addc_co_u32_e32 v5, vcc, v5, v0, vcc
	global_store_dwordx2 v[4:5], v[12:13], off
	buffer_wbl2
	s_waitcnt vmcnt(0)
	global_atomic_cmpswap_x2 v[2:3], v6, v[10:13], s[6:7] offset:32 glc
	s_waitcnt vmcnt(0)
	v_cmp_ne_u64_e32 vcc, v[2:3], v[12:13]
	s_and_saveexec_b64 s[14:15], vcc
	s_cbranch_execz .LBB3_131
; %bb.129:
	s_mov_b64 s[16:17], 0
.LBB3_130:                              ; =>This Inner Loop Header: Depth=1
	s_sleep 1
	global_store_dwordx2 v[4:5], v[2:3], off
	v_mov_b32_e32 v0, s10
	v_mov_b32_e32 v1, s11
	buffer_wbl2
	s_waitcnt vmcnt(0)
	global_atomic_cmpswap_x2 v[0:1], v6, v[0:3], s[6:7] offset:32 glc
	s_waitcnt vmcnt(0)
	v_cmp_eq_u64_e32 vcc, v[0:1], v[2:3]
	s_or_b64 s[16:17], vcc, s[16:17]
	v_pk_mov_b32 v[2:3], v[0:1], v[0:1] op_sel:[0,1]
	s_andn2_b64 exec, exec, s[16:17]
	s_cbranch_execnz .LBB3_130
.LBB3_131:
	s_or_b64 exec, exec, s[14:15]
	v_mov_b32_e32 v3, 0
	global_load_dwordx2 v[0:1], v3, s[6:7] offset:16
	s_mov_b64 s[14:15], exec
	v_mbcnt_lo_u32_b32 v2, s14, 0
	v_mbcnt_hi_u32_b32 v2, s15, v2
	v_cmp_eq_u32_e32 vcc, 0, v2
	s_and_saveexec_b64 s[16:17], vcc
	s_cbranch_execz .LBB3_133
; %bb.132:
	s_bcnt1_i32_b64 s14, s[14:15]
	v_mov_b32_e32 v2, s14
	buffer_wbl2
	s_waitcnt vmcnt(0)
	global_atomic_add_x2 v[0:1], v[2:3], off offset:8
.LBB3_133:
	s_or_b64 exec, exec, s[16:17]
	s_waitcnt vmcnt(0)
	global_load_dwordx2 v[2:3], v[0:1], off offset:16
	s_waitcnt vmcnt(0)
	v_cmp_eq_u64_e32 vcc, 0, v[2:3]
	s_cbranch_vccnz .LBB3_135
; %bb.134:
	global_load_dword v0, v[0:1], off offset:24
	v_mov_b32_e32 v1, 0
	buffer_wbl2
	s_waitcnt vmcnt(0)
	global_store_dwordx2 v[2:3], v[0:1], off
	v_and_b32_e32 v0, 0xffffff, v0
	v_readfirstlane_b32 m0, v0
	s_sendmsg sendmsg(MSG_INTERRUPT)
.LBB3_135:
	s_or_b64 exec, exec, s[12:13]
	s_branch .LBB3_139
.LBB3_136:                              ;   in Loop: Header=BB3_139 Depth=1
	s_or_b64 exec, exec, s[12:13]
	v_readfirstlane_b32 s12, v0
	s_cmp_eq_u32 s12, 0
	s_cbranch_scc1 .LBB3_138
; %bb.137:                              ;   in Loop: Header=BB3_139 Depth=1
	s_sleep 1
	s_cbranch_execnz .LBB3_139
	s_branch .LBB3_141
.LBB3_138:
	s_branch .LBB3_141
.LBB3_139:                              ; =>This Inner Loop Header: Depth=1
	v_mov_b32_e32 v0, 1
	s_and_saveexec_b64 s[12:13], s[4:5]
	s_cbranch_execz .LBB3_136
; %bb.140:                              ;   in Loop: Header=BB3_139 Depth=1
	global_load_dword v0, v[8:9], off offset:20 glc
	s_waitcnt vmcnt(0)
	buffer_invl2
	buffer_wbinvl1_vol
	v_and_b32_e32 v0, 1, v0
	s_branch .LBB3_136
.LBB3_141:
	s_and_saveexec_b64 s[12:13], s[4:5]
	s_cbranch_execz .LBB3_144
; %bb.142:
	v_mov_b32_e32 v6, 0
	global_load_dwordx2 v[4:5], v6, s[6:7] offset:40
	global_load_dwordx2 v[8:9], v6, s[6:7] offset:24 glc
	global_load_dwordx2 v[10:11], v6, s[6:7]
	v_mov_b32_e32 v1, s11
	s_mov_b64 s[4:5], 0
	s_waitcnt vmcnt(2)
	v_add_co_u32_e32 v3, vcc, 1, v4
	v_addc_co_u32_e32 v7, vcc, 0, v5, vcc
	v_add_co_u32_e32 v0, vcc, s10, v3
	v_addc_co_u32_e32 v1, vcc, v7, v1, vcc
	v_cmp_eq_u64_e32 vcc, 0, v[0:1]
	v_cndmask_b32_e32 v1, v1, v7, vcc
	v_cndmask_b32_e32 v0, v0, v3, vcc
	v_and_b32_e32 v3, v1, v5
	v_and_b32_e32 v4, v0, v4
	v_mul_lo_u32 v3, v3, 24
	v_mul_hi_u32 v5, v4, 24
	v_mul_lo_u32 v4, v4, 24
	v_add_u32_e32 v3, v5, v3
	s_waitcnt vmcnt(0)
	v_add_co_u32_e32 v4, vcc, v10, v4
	v_addc_co_u32_e32 v5, vcc, v11, v3, vcc
	v_mov_b32_e32 v2, v8
	global_store_dwordx2 v[4:5], v[8:9], off
	v_mov_b32_e32 v3, v9
	buffer_wbl2
	s_waitcnt vmcnt(0)
	global_atomic_cmpswap_x2 v[2:3], v6, v[0:3], s[6:7] offset:24 glc
	s_waitcnt vmcnt(0)
	v_cmp_ne_u64_e32 vcc, v[2:3], v[8:9]
	s_and_b64 exec, exec, vcc
	s_cbranch_execz .LBB3_144
.LBB3_143:                              ; =>This Inner Loop Header: Depth=1
	s_sleep 1
	global_store_dwordx2 v[4:5], v[2:3], off
	buffer_wbl2
	s_waitcnt vmcnt(0)
	global_atomic_cmpswap_x2 v[8:9], v6, v[0:3], s[6:7] offset:24 glc
	s_waitcnt vmcnt(0)
	v_cmp_eq_u64_e32 vcc, v[8:9], v[2:3]
	s_or_b64 s[4:5], vcc, s[4:5]
	v_pk_mov_b32 v[2:3], v[8:9], v[8:9] op_sel:[0,1]
	s_andn2_b64 exec, exec, s[4:5]
	s_cbranch_execnz .LBB3_143
.LBB3_144:
	s_or_b64 exec, exec, s[12:13]
.LBB3_145:
	s_getpc_b64 s[4:5]
	s_add_u32 s4, s4, .str.29@rel32@lo+4
	s_addc_u32 s5, s5, .str.29@rel32@hi+12
	s_getpc_b64 s[6:7]
	s_add_u32 s6, s6, .str.19@rel32@lo+4
	s_addc_u32 s7, s7, .str.19@rel32@hi+12
	s_getpc_b64 s[10:11]
	s_add_u32 s10, s10, __PRETTY_FUNCTION__._ZN7VecsMemIjLi8192EE5fetchEi@rel32@lo+4
	s_addc_u32 s11, s11, __PRETTY_FUNCTION__._ZN7VecsMemIjLi8192EE5fetchEi@rel32@hi+12
	s_waitcnt vmcnt(0)
	v_mov_b32_e32 v0, s4
	v_mov_b32_e32 v1, s5
	;; [unrolled: 1-line block ×7, first 2 shown]
	s_getpc_b64 s[12:13]
	s_add_u32 s12, s12, __assert_fail@rel32@lo+4
	s_addc_u32 s13, s13, __assert_fail@rel32@hi+12
	s_mov_b64 s[26:27], s[8:9]
	s_swappc_b64 s[30:31], s[12:13]
	s_mov_b64 s[8:9], s[26:27]
	s_mov_b64 s[4:5], exec
	v_mov_b32_e32 v4, v54
.LBB3_146:
	s_or_b64 exec, exec, s[36:37]
	v_accvgpr_read_b32 v0, a0
	s_and_b64 s[86:87], s[4:5], exec
	s_orn2_b64 s[4:5], s[34:35], exec
	v_accvgpr_read_b32 v1, a1
	s_or_b64 exec, exec, s[28:29]
	s_and_saveexec_b64 s[88:89], s[4:5]
	s_cbranch_execz .LBB3_2
.LBB3_147:
	s_mov_b64 s[4:5], 0
	v_cmp_ne_u64_e32 vcc, 0, v[0:1]
	s_mov_b64 s[26:27], s[86:87]
	s_and_saveexec_b64 s[6:7], vcc
	s_xor_b64 s[54:55], exec, s[6:7]
	s_cbranch_execz .LBB3_671
; %bb.148:
	v_accvgpr_write_b32 a33, v1
	v_accvgpr_write_b32 a32, v0
	v_mov_b32_e32 v1, 0
	v_mov_b32_e32 v0, v42
                                        ; implicit-def: $sgpr10_sgpr11
                                        ; implicit-def: $sgpr12_sgpr13
                                        ; implicit-def: $sgpr6_sgpr7
	s_branch .LBB3_150
.LBB3_149:                              ;   in Loop: Header=BB3_150 Depth=1
	s_or_b64 exec, exec, s[14:15]
	s_xor_b64 s[14:15], s[6:7], -1
	s_and_b64 s[16:17], exec, s[12:13]
	s_or_b64 s[4:5], s[16:17], s[4:5]
	s_andn2_b64 s[10:11], s[10:11], exec
	s_and_b64 s[14:15], s[14:15], exec
	s_or_b64 s[10:11], s[10:11], s[14:15]
	s_andn2_b64 exec, exec, s[4:5]
	s_cbranch_execz .LBB3_152
.LBB3_150:                              ; =>This Inner Loop Header: Depth=1
	v_cmp_lt_i32_e32 vcc, 0, v0
	s_or_b64 s[6:7], s[6:7], exec
	s_or_b64 s[12:13], s[12:13], exec
	s_and_saveexec_b64 s[14:15], vcc
	s_cbranch_execz .LBB3_149
; %bb.151:                              ;   in Loop: Header=BB3_150 Depth=1
	v_add_u32_e32 v0, -1, v0
	v_lshlrev_b64 v[2:3], 2, v[0:1]
	v_add_co_u32_e32 v2, vcc, v46, v2
	v_addc_co_u32_e32 v3, vcc, v47, v3, vcc
	flat_load_dword v2, v[2:3]
	s_andn2_b64 s[12:13], s[12:13], exec
	s_andn2_b64 s[6:7], s[6:7], exec
	s_waitcnt vmcnt(0) lgkmcnt(0)
	v_cmp_ne_u32_e32 vcc, 0, v2
	s_and_b64 s[16:17], vcc, exec
	s_or_b64 s[12:13], s[12:13], s[16:17]
	s_branch .LBB3_149
.LBB3_152:
	s_or_b64 exec, exec, s[4:5]
	s_mov_b64 s[6:7], 0
	s_mov_b64 s[4:5], s[86:87]
	s_and_saveexec_b64 s[12:13], s[10:11]
	s_xor_b64 s[52:53], exec, s[12:13]
	s_cbranch_execz .LBB3_660
; %bb.153:
	v_mov_b32_e32 v1, 0
	v_mov_b32_e32 v0, v42
                                        ; implicit-def: $sgpr4_sgpr5
                                        ; implicit-def: $sgpr12_sgpr13
                                        ; implicit-def: $sgpr10_sgpr11
	s_branch .LBB3_155
.LBB3_154:                              ;   in Loop: Header=BB3_155 Depth=1
	s_or_b64 exec, exec, s[14:15]
	s_xor_b64 s[14:15], s[10:11], -1
	s_and_b64 s[16:17], exec, s[12:13]
	s_or_b64 s[6:7], s[16:17], s[6:7]
	s_andn2_b64 s[4:5], s[4:5], exec
	s_and_b64 s[14:15], s[14:15], exec
	s_or_b64 s[4:5], s[4:5], s[14:15]
	s_andn2_b64 exec, exec, s[6:7]
	s_cbranch_execz .LBB3_157
.LBB3_155:                              ; =>This Inner Loop Header: Depth=1
	v_cmp_lt_i32_e32 vcc, 0, v0
	s_or_b64 s[10:11], s[10:11], exec
	s_or_b64 s[12:13], s[12:13], exec
	s_and_saveexec_b64 s[14:15], vcc
	s_cbranch_execz .LBB3_154
; %bb.156:                              ;   in Loop: Header=BB3_155 Depth=1
	v_add_u32_e32 v0, -1, v0
	v_lshlrev_b64 v[2:3], 2, v[0:1]
	v_add_co_u32_e32 v2, vcc, v44, v2
	v_addc_co_u32_e32 v3, vcc, v45, v3, vcc
	flat_load_dword v2, v[2:3]
	s_andn2_b64 s[12:13], s[12:13], exec
	s_andn2_b64 s[10:11], s[10:11], exec
	s_waitcnt vmcnt(0) lgkmcnt(0)
	v_cmp_ne_u32_e32 vcc, -1, v2
	s_and_b64 s[16:17], vcc, exec
	s_or_b64 s[12:13], s[12:13], s[16:17]
	s_branch .LBB3_154
.LBB3_157:
	s_or_b64 exec, exec, s[6:7]
	s_mov_b64 s[28:29], 0
	s_mov_b64 s[34:35], s[86:87]
	s_and_saveexec_b64 s[6:7], s[4:5]
	s_xor_b64 s[6:7], exec, s[6:7]
                                        ; implicit-def: $vgpr61 : SGPR spill to VGPR lane
	v_writelane_b32 v61, s6, 0
	v_writelane_b32 v61, s7, 1
	s_cbranch_execz .LBB3_507
; %bb.158:
	v_cmp_lt_i32_e32 vcc, 0, v4
	s_mov_b64 s[4:5], -1
                                        ; implicit-def: $sgpr90_sgpr91
                                        ; implicit-def: $vgpr41
                                        ; implicit-def: $vgpr54
	s_and_saveexec_b64 s[10:11], vcc
	s_cbranch_execz .LBB3_292
; %bb.159:
	v_cmp_lt_i32_e32 vcc, 0, v42
	s_mov_b64 s[14:15], 0
                                        ; implicit-def: $sgpr12_sgpr13
	s_branch .LBB3_162
.LBB3_160:                              ;   in Loop: Header=BB3_162 Depth=1
	s_or_b64 exec, exec, s[6:7]
	s_andn2_b64 s[6:7], s[16:17], exec
	s_and_b64 s[16:17], s[22:23], exec
	s_or_b64 s[16:17], s[6:7], s[16:17]
	s_orn2_b64 s[4:5], s[4:5], exec
	v_mov_b32_e32 v4, v41
.LBB3_161:                              ;   in Loop: Header=BB3_162 Depth=1
	s_or_b64 exec, exec, s[18:19]
	s_xor_b64 s[6:7], s[16:17], -1
	s_and_b64 s[4:5], exec, s[4:5]
	s_or_b64 s[14:15], s[4:5], s[14:15]
	s_andn2_b64 s[4:5], s[12:13], exec
	s_and_b64 s[6:7], s[6:7], exec
	s_or_b64 s[12:13], s[4:5], s[6:7]
	s_andn2_b64 exec, exec, s[14:15]
	s_cbranch_execz .LBB3_291
.LBB3_162:                              ; =>This Loop Header: Depth=1
                                        ;     Child Loop BB3_171 Depth 2
                                        ;       Child Loop BB3_174 Depth 3
                                        ;     Child Loop BB3_185 Depth 2
                                        ;     Child Loop BB3_194 Depth 2
	;; [unrolled: 1-line block ×10, first 2 shown]
                                        ;       Child Loop BB3_276 Depth 3
                                        ;     Child Loop BB3_286 Depth 2
	v_add_u32_e32 v41, -1, v4
	v_cmp_lt_i32_e64 s[4:5], 2, v4
	s_mov_b64 s[6:7], 0
                                        ; implicit-def: $sgpr16_sgpr17
                                        ; implicit-def: $vgpr54
	s_and_saveexec_b64 s[18:19], s[4:5]
	s_xor_b64 s[18:19], exec, s[18:19]
	s_cbranch_execnz .LBB3_165
; %bb.163:                              ;   in Loop: Header=BB3_162 Depth=1
	s_andn2_saveexec_b64 s[18:19], s[18:19]
	s_cbranch_execnz .LBB3_208
.LBB3_164:                              ;   in Loop: Header=BB3_162 Depth=1
	s_or_b64 exec, exec, s[18:19]
	s_mov_b64 s[4:5], -1
	s_and_saveexec_b64 s[18:19], s[6:7]
	s_cbranch_execz .LBB3_161
	s_branch .LBB3_225
.LBB3_165:                              ;   in Loop: Header=BB3_162 Depth=1
	v_cmp_lt_i32_e64 s[4:5], 3, v4
                                        ; implicit-def: $sgpr20_sgpr21
                                        ; implicit-def: $vgpr54
	s_and_saveexec_b64 s[16:17], s[4:5]
	s_xor_b64 s[16:17], exec, s[16:17]
	s_cbranch_execz .LBB3_199
; %bb.166:                              ;   in Loop: Header=BB3_162 Depth=1
	v_cmp_lt_i32_e64 s[4:5], 4, v4
                                        ; implicit-def: $sgpr22_sgpr23
                                        ; implicit-def: $vgpr54
	s_and_saveexec_b64 s[20:21], s[4:5]
	s_xor_b64 s[20:21], exec, s[20:21]
	s_cbranch_execz .LBB3_190
; %bb.167:                              ;   in Loop: Header=BB3_162 Depth=1
	v_cmp_ne_u32_e64 s[4:5], 5, v4
                                        ; implicit-def: $sgpr24_sgpr25
                                        ; implicit-def: $vgpr54
	s_and_saveexec_b64 s[22:23], s[4:5]
	s_xor_b64 s[22:23], exec, s[22:23]
	s_cbranch_execz .LBB3_181
; %bb.168:                              ;   in Loop: Header=BB3_162 Depth=1
	s_mov_b64 s[4:5], -1
                                        ; implicit-def: $sgpr6_sgpr7
	s_and_saveexec_b64 s[24:25], vcc
	s_cbranch_execz .LBB3_180
; %bb.169:                              ;   in Loop: Header=BB3_162 Depth=1
	v_add_u32_e32 v0, -6, v4
	v_lshlrev_b32_e64 v2, v0, 1
	v_cmp_ne_u32_e64 s[4:5], 31, v0
	v_lshlrev_b32_e64 v0, v0, 2
	v_ashrrev_i32_e32 v1, 31, v0
	v_ashrrev_i32_e32 v3, 31, v2
	v_max_i32_e32 v5, 1, v2
	v_lshlrev_b64 v[2:3], 2, v[2:3]
	v_lshlrev_b64 v[6:7], 2, v[0:1]
	s_mov_b64 s[26:27], 0
	v_mov_b32_e32 v1, 0
	v_pk_mov_b32 v[8:9], v[46:47], v[46:47] op_sel:[0,1]
                                        ; implicit-def: $sgpr28_sgpr29
                                        ; implicit-def: $sgpr30_sgpr31
	s_branch .LBB3_171
.LBB3_170:                              ;   in Loop: Header=BB3_171 Depth=2
	s_or_b64 exec, exec, s[36:37]
	s_xor_b64 s[6:7], s[38:39], -1
	s_and_b64 s[34:35], exec, s[34:35]
	s_or_b64 s[26:27], s[34:35], s[26:27]
	s_andn2_b64 s[30:31], s[30:31], exec
	s_and_b64 s[34:35], s[38:39], exec
	s_andn2_b64 s[28:29], s[28:29], exec
	s_and_b64 s[6:7], s[6:7], exec
	s_or_b64 s[30:31], s[30:31], s[34:35]
	s_or_b64 s[28:29], s[28:29], s[6:7]
	s_andn2_b64 exec, exec, s[26:27]
	s_cbranch_execz .LBB3_179
.LBB3_171:                              ;   Parent Loop BB3_162 Depth=1
                                        ; =>  This Loop Header: Depth=2
                                        ;       Child Loop BB3_174 Depth 3
	s_mov_b64 s[34:35], -1
	s_mov_b64 s[6:7], -1
                                        ; implicit-def: $sgpr38_sgpr39
	s_and_saveexec_b64 s[36:37], s[4:5]
	s_cbranch_execz .LBB3_177
; %bb.172:                              ;   in Loop: Header=BB3_171 Depth=2
	s_mov_b64 s[38:39], 0
	v_pk_mov_b32 v[10:11], v[8:9], v[8:9] op_sel:[0,1]
	v_mov_b32_e32 v12, v5
                                        ; implicit-def: $sgpr40_sgpr41
                                        ; implicit-def: $sgpr44_sgpr45
                                        ; implicit-def: $sgpr42_sgpr43
	s_branch .LBB3_174
.LBB3_173:                              ;   in Loop: Header=BB3_174 Depth=3
	s_or_b64 exec, exec, s[46:47]
	s_xor_b64 s[6:7], s[42:43], -1
	s_and_b64 s[46:47], exec, s[44:45]
	s_or_b64 s[38:39], s[46:47], s[38:39]
	s_andn2_b64 s[40:41], s[40:41], exec
	s_and_b64 s[6:7], s[6:7], exec
	s_or_b64 s[40:41], s[40:41], s[6:7]
	s_andn2_b64 exec, exec, s[38:39]
	s_cbranch_execz .LBB3_176
.LBB3_174:                              ;   Parent Loop BB3_162 Depth=1
                                        ;     Parent Loop BB3_171 Depth=2
                                        ; =>    This Inner Loop Header: Depth=3
	v_add_co_u32_e64 v14, s[6:7], v10, v2
	v_addc_co_u32_e64 v15, s[6:7], v11, v3, s[6:7]
	flat_load_dword v13, v[10:11]
	s_nop 0
	flat_load_dword v14, v[14:15]
	s_or_b64 s[42:43], s[42:43], exec
	s_or_b64 s[44:45], s[44:45], exec
	s_waitcnt vmcnt(0) lgkmcnt(0)
	v_cmp_eq_u32_e64 s[6:7], v13, v14
	s_and_saveexec_b64 s[46:47], s[6:7]
	s_cbranch_execz .LBB3_173
; %bb.175:                              ;   in Loop: Header=BB3_174 Depth=3
	v_add_co_u32_e64 v10, s[6:7], 4, v10
	v_add_u32_e32 v12, -1, v12
	v_addc_co_u32_e64 v11, s[6:7], 0, v11, s[6:7]
	v_cmp_eq_u32_e64 s[6:7], 0, v12
	s_andn2_b64 s[44:45], s[44:45], exec
	s_and_b64 s[6:7], s[6:7], exec
	s_andn2_b64 s[42:43], s[42:43], exec
	s_or_b64 s[44:45], s[44:45], s[6:7]
	s_branch .LBB3_173
.LBB3_176:                              ;   in Loop: Header=BB3_171 Depth=2
	s_or_b64 exec, exec, s[38:39]
	s_mov_b64 s[38:39], -1
	s_orn2_b64 s[6:7], s[40:41], exec
.LBB3_177:                              ;   in Loop: Header=BB3_171 Depth=2
	s_or_b64 exec, exec, s[36:37]
	s_and_saveexec_b64 s[36:37], s[6:7]
	s_cbranch_execz .LBB3_170
; %bb.178:                              ;   in Loop: Header=BB3_171 Depth=2
	v_add_co_u32_e64 v8, s[6:7], v8, v6
	v_add_u32_e32 v1, v1, v0
	v_addc_co_u32_e64 v9, s[6:7], v9, v7, s[6:7]
	v_cmp_ge_i32_e64 s[6:7], v1, v42
	s_andn2_b64 s[38:39], s[38:39], exec
	s_orn2_b64 s[34:35], s[6:7], exec
	s_branch .LBB3_170
.LBB3_179:                              ;   in Loop: Header=BB3_162 Depth=1
	s_or_b64 exec, exec, s[26:27]
	s_and_b64 s[6:7], s[30:31], exec
	s_orn2_b64 s[4:5], s[28:29], exec
.LBB3_180:                              ;   in Loop: Header=BB3_162 Depth=1
	s_or_b64 exec, exec, s[24:25]
	s_and_b64 s[24:25], s[6:7], exec
	s_and_b64 s[6:7], s[4:5], exec
	v_mov_b32_e32 v54, v4
.LBB3_181:                              ;   in Loop: Header=BB3_162 Depth=1
	s_andn2_saveexec_b64 s[22:23], s[22:23]
	s_cbranch_execz .LBB3_189
; %bb.182:                              ;   in Loop: Header=BB3_162 Depth=1
	s_mov_b64 s[4:5], -1
                                        ; implicit-def: $sgpr28_sgpr29
                                        ; implicit-def: $sgpr34
	s_and_saveexec_b64 s[26:27], vcc
	s_cbranch_execz .LBB3_188
; %bb.183:                              ;   in Loop: Header=BB3_162 Depth=1
	s_mov_b64 s[28:29], 0
	v_pk_mov_b32 v[0:1], v[46:47], v[46:47] op_sel:[0,1]
	v_mov_b32_e32 v2, v42
                                        ; implicit-def: $sgpr30_sgpr31
                                        ; implicit-def: $sgpr36_sgpr37
                                        ; implicit-def: $sgpr34_sgpr35
	s_branch .LBB3_185
.LBB3_184:                              ;   in Loop: Header=BB3_185 Depth=2
	s_or_b64 exec, exec, s[38:39]
	s_xor_b64 s[4:5], s[34:35], -1
	s_and_b64 s[38:39], exec, s[36:37]
	s_or_b64 s[28:29], s[38:39], s[28:29]
	s_andn2_b64 s[30:31], s[30:31], exec
	s_and_b64 s[4:5], s[4:5], exec
	s_or_b64 s[30:31], s[30:31], s[4:5]
	s_andn2_b64 exec, exec, s[28:29]
	s_cbranch_execz .LBB3_187
.LBB3_185:                              ;   Parent Loop BB3_162 Depth=1
                                        ; =>  This Inner Loop Header: Depth=2
	flat_load_dword v3, v[0:1]
	s_or_b64 s[34:35], s[34:35], exec
	s_or_b64 s[36:37], s[36:37], exec
	s_waitcnt vmcnt(0) lgkmcnt(0)
	v_cmp_eq_u32_sdwa s[4:5], v3, v3 src0_sel:WORD_0 src1_sel:WORD_1
	s_and_saveexec_b64 s[38:39], s[4:5]
	s_cbranch_execz .LBB3_184
; %bb.186:                              ;   in Loop: Header=BB3_185 Depth=2
	v_add_co_u32_e64 v0, s[4:5], 4, v0
	v_add_u32_e32 v2, -1, v2
	v_addc_co_u32_e64 v1, s[4:5], 0, v1, s[4:5]
	v_cmp_eq_u32_e64 s[4:5], 0, v2
	s_andn2_b64 s[36:37], s[36:37], exec
	s_and_b64 s[4:5], s[4:5], exec
	s_andn2_b64 s[34:35], s[34:35], exec
	s_or_b64 s[36:37], s[36:37], s[4:5]
	s_branch .LBB3_184
.LBB3_187:                              ;   in Loop: Header=BB3_162 Depth=1
	s_or_b64 exec, exec, s[28:29]
	s_mov_b32 s34, 5
	s_mov_b64 s[28:29], -1
	s_orn2_b64 s[4:5], s[30:31], exec
.LBB3_188:                              ;   in Loop: Header=BB3_162 Depth=1
	s_or_b64 exec, exec, s[26:27]
	s_andn2_b64 s[24:25], s[24:25], exec
	s_and_b64 s[26:27], s[28:29], exec
	s_andn2_b64 s[6:7], s[6:7], exec
	s_and_b64 s[4:5], s[4:5], exec
	v_mov_b32_e32 v54, s34
	s_or_b64 s[24:25], s[24:25], s[26:27]
	s_or_b64 s[6:7], s[6:7], s[4:5]
.LBB3_189:                              ;   in Loop: Header=BB3_162 Depth=1
	s_or_b64 exec, exec, s[22:23]
	s_and_b64 s[22:23], s[24:25], exec
	s_and_b64 s[6:7], s[6:7], exec
.LBB3_190:                              ;   in Loop: Header=BB3_162 Depth=1
	s_andn2_saveexec_b64 s[20:21], s[20:21]
	s_cbranch_execz .LBB3_198
; %bb.191:                              ;   in Loop: Header=BB3_162 Depth=1
	s_mov_b64 s[4:5], -1
                                        ; implicit-def: $sgpr26_sgpr27
                                        ; implicit-def: $sgpr30
	s_and_saveexec_b64 s[24:25], vcc
	s_cbranch_execz .LBB3_197
; %bb.192:                              ;   in Loop: Header=BB3_162 Depth=1
	s_mov_b64 s[26:27], 0
	v_pk_mov_b32 v[0:1], v[46:47], v[46:47] op_sel:[0,1]
	v_mov_b32_e32 v2, v42
                                        ; implicit-def: $sgpr28_sgpr29
                                        ; implicit-def: $sgpr34_sgpr35
                                        ; implicit-def: $sgpr30_sgpr31
	s_branch .LBB3_194
.LBB3_193:                              ;   in Loop: Header=BB3_194 Depth=2
	s_or_b64 exec, exec, s[36:37]
	s_xor_b64 s[4:5], s[30:31], -1
	s_and_b64 s[36:37], exec, s[34:35]
	s_or_b64 s[26:27], s[36:37], s[26:27]
	s_andn2_b64 s[28:29], s[28:29], exec
	s_and_b64 s[4:5], s[4:5], exec
	s_or_b64 s[28:29], s[28:29], s[4:5]
	s_andn2_b64 exec, exec, s[26:27]
	s_cbranch_execz .LBB3_196
.LBB3_194:                              ;   Parent Loop BB3_162 Depth=1
                                        ; =>  This Inner Loop Header: Depth=2
	flat_load_dword v3, v[0:1]
	s_or_b64 s[30:31], s[30:31], exec
	s_or_b64 s[34:35], s[34:35], exec
	s_waitcnt vmcnt(0) lgkmcnt(0)
	v_lshrrev_b32_e32 v5, 8, v3
	v_xor_b32_e32 v3, v5, v3
	v_and_b32_e32 v3, 0xff00ff, v3
	v_cmp_eq_u32_e64 s[4:5], 0, v3
	s_and_saveexec_b64 s[36:37], s[4:5]
	s_cbranch_execz .LBB3_193
; %bb.195:                              ;   in Loop: Header=BB3_194 Depth=2
	v_add_co_u32_e64 v0, s[4:5], 4, v0
	v_add_u32_e32 v2, -1, v2
	v_addc_co_u32_e64 v1, s[4:5], 0, v1, s[4:5]
	v_cmp_eq_u32_e64 s[4:5], 0, v2
	s_andn2_b64 s[34:35], s[34:35], exec
	s_and_b64 s[4:5], s[4:5], exec
	s_andn2_b64 s[30:31], s[30:31], exec
	s_or_b64 s[34:35], s[34:35], s[4:5]
	s_branch .LBB3_193
.LBB3_196:                              ;   in Loop: Header=BB3_162 Depth=1
	s_or_b64 exec, exec, s[26:27]
	s_mov_b32 s30, 4
	s_mov_b64 s[26:27], -1
	s_orn2_b64 s[4:5], s[28:29], exec
.LBB3_197:                              ;   in Loop: Header=BB3_162 Depth=1
	s_or_b64 exec, exec, s[24:25]
	s_andn2_b64 s[22:23], s[22:23], exec
	s_and_b64 s[24:25], s[26:27], exec
	s_andn2_b64 s[6:7], s[6:7], exec
	s_and_b64 s[4:5], s[4:5], exec
	v_mov_b32_e32 v54, s30
	s_or_b64 s[22:23], s[22:23], s[24:25]
	s_or_b64 s[6:7], s[6:7], s[4:5]
.LBB3_198:                              ;   in Loop: Header=BB3_162 Depth=1
	s_or_b64 exec, exec, s[20:21]
	s_and_b64 s[20:21], s[22:23], exec
	s_and_b64 s[6:7], s[6:7], exec
.LBB3_199:                              ;   in Loop: Header=BB3_162 Depth=1
	s_andn2_saveexec_b64 s[16:17], s[16:17]
	s_cbranch_execz .LBB3_207
; %bb.200:                              ;   in Loop: Header=BB3_162 Depth=1
	s_mov_b64 s[4:5], -1
                                        ; implicit-def: $sgpr24_sgpr25
                                        ; implicit-def: $sgpr28
	s_and_saveexec_b64 s[22:23], vcc
	s_cbranch_execz .LBB3_206
; %bb.201:                              ;   in Loop: Header=BB3_162 Depth=1
	s_mov_b64 s[24:25], 0
	v_pk_mov_b32 v[0:1], v[46:47], v[46:47] op_sel:[0,1]
	v_mov_b32_e32 v2, v42
                                        ; implicit-def: $sgpr26_sgpr27
                                        ; implicit-def: $sgpr30_sgpr31
                                        ; implicit-def: $sgpr28_sgpr29
	s_branch .LBB3_203
.LBB3_202:                              ;   in Loop: Header=BB3_203 Depth=2
	s_or_b64 exec, exec, s[34:35]
	s_xor_b64 s[4:5], s[28:29], -1
	s_and_b64 s[34:35], exec, s[30:31]
	s_or_b64 s[24:25], s[34:35], s[24:25]
	s_andn2_b64 s[26:27], s[26:27], exec
	s_and_b64 s[4:5], s[4:5], exec
	s_or_b64 s[26:27], s[26:27], s[4:5]
	s_andn2_b64 exec, exec, s[24:25]
	s_cbranch_execz .LBB3_205
.LBB3_203:                              ;   Parent Loop BB3_162 Depth=1
                                        ; =>  This Inner Loop Header: Depth=2
	flat_load_dword v3, v[0:1]
	s_or_b64 s[28:29], s[28:29], exec
	s_or_b64 s[30:31], s[30:31], exec
	s_waitcnt vmcnt(0) lgkmcnt(0)
	v_lshrrev_b32_e32 v5, 4, v3
	v_xor_b32_e32 v3, v5, v3
	v_and_b32_e32 v3, 0xf0f0f0f, v3
	v_cmp_eq_u32_e64 s[4:5], 0, v3
	s_and_saveexec_b64 s[34:35], s[4:5]
	s_cbranch_execz .LBB3_202
; %bb.204:                              ;   in Loop: Header=BB3_203 Depth=2
	v_add_co_u32_e64 v0, s[4:5], 4, v0
	v_add_u32_e32 v2, -1, v2
	v_addc_co_u32_e64 v1, s[4:5], 0, v1, s[4:5]
	v_cmp_eq_u32_e64 s[4:5], 0, v2
	s_andn2_b64 s[30:31], s[30:31], exec
	s_and_b64 s[4:5], s[4:5], exec
	s_andn2_b64 s[28:29], s[28:29], exec
	s_or_b64 s[30:31], s[30:31], s[4:5]
	s_branch .LBB3_202
.LBB3_205:                              ;   in Loop: Header=BB3_162 Depth=1
	s_or_b64 exec, exec, s[24:25]
	s_mov_b32 s28, 3
	s_mov_b64 s[24:25], -1
	s_orn2_b64 s[4:5], s[26:27], exec
.LBB3_206:                              ;   in Loop: Header=BB3_162 Depth=1
	s_or_b64 exec, exec, s[22:23]
	s_andn2_b64 s[20:21], s[20:21], exec
	s_and_b64 s[22:23], s[24:25], exec
	s_andn2_b64 s[6:7], s[6:7], exec
	s_and_b64 s[4:5], s[4:5], exec
	v_mov_b32_e32 v54, s28
	s_or_b64 s[20:21], s[20:21], s[22:23]
	s_or_b64 s[6:7], s[6:7], s[4:5]
.LBB3_207:                              ;   in Loop: Header=BB3_162 Depth=1
	s_or_b64 exec, exec, s[16:17]
	s_and_b64 s[16:17], s[20:21], exec
	s_and_b64 s[6:7], s[6:7], exec
	s_andn2_saveexec_b64 s[18:19], s[18:19]
	s_cbranch_execz .LBB3_164
.LBB3_208:                              ;   in Loop: Header=BB3_162 Depth=1
	v_cmp_lt_i32_e64 s[4:5], 1, v4
	s_mov_b64 s[22:23], s[6:7]
                                        ; implicit-def: $sgpr20_sgpr21
                                        ; implicit-def: $sgpr28
	s_and_saveexec_b64 s[24:25], s[4:5]
	s_xor_b64 s[24:25], exec, s[24:25]
	s_cbranch_execz .LBB3_216
; %bb.209:                              ;   in Loop: Header=BB3_162 Depth=1
	s_mov_b64 s[4:5], -1
                                        ; implicit-def: $sgpr20_sgpr21
                                        ; implicit-def: $sgpr28
	s_and_saveexec_b64 s[22:23], vcc
	s_cbranch_execz .LBB3_215
; %bb.210:                              ;   in Loop: Header=BB3_162 Depth=1
	s_mov_b64 s[20:21], 0
	v_pk_mov_b32 v[0:1], v[46:47], v[46:47] op_sel:[0,1]
	v_mov_b32_e32 v2, v42
                                        ; implicit-def: $sgpr26_sgpr27
                                        ; implicit-def: $sgpr30_sgpr31
                                        ; implicit-def: $sgpr28_sgpr29
	s_branch .LBB3_212
.LBB3_211:                              ;   in Loop: Header=BB3_212 Depth=2
	s_or_b64 exec, exec, s[34:35]
	s_xor_b64 s[4:5], s[28:29], -1
	s_and_b64 s[34:35], exec, s[30:31]
	s_or_b64 s[20:21], s[34:35], s[20:21]
	s_andn2_b64 s[26:27], s[26:27], exec
	s_and_b64 s[4:5], s[4:5], exec
	s_or_b64 s[26:27], s[26:27], s[4:5]
	s_andn2_b64 exec, exec, s[20:21]
	s_cbranch_execz .LBB3_214
.LBB3_212:                              ;   Parent Loop BB3_162 Depth=1
                                        ; =>  This Inner Loop Header: Depth=2
	flat_load_dword v3, v[0:1]
	s_or_b64 s[28:29], s[28:29], exec
	s_or_b64 s[30:31], s[30:31], exec
	s_waitcnt vmcnt(0) lgkmcnt(0)
	v_lshrrev_b32_e32 v5, 2, v3
	v_xor_b32_e32 v3, v5, v3
	v_and_b32_e32 v3, 0x33333333, v3
	v_cmp_eq_u32_e64 s[4:5], 0, v3
	s_and_saveexec_b64 s[34:35], s[4:5]
	s_cbranch_execz .LBB3_211
; %bb.213:                              ;   in Loop: Header=BB3_212 Depth=2
	v_add_co_u32_e64 v0, s[4:5], 4, v0
	v_add_u32_e32 v2, -1, v2
	v_addc_co_u32_e64 v1, s[4:5], 0, v1, s[4:5]
	v_cmp_eq_u32_e64 s[4:5], 0, v2
	s_andn2_b64 s[30:31], s[30:31], exec
	s_and_b64 s[4:5], s[4:5], exec
	s_andn2_b64 s[28:29], s[28:29], exec
	s_or_b64 s[30:31], s[30:31], s[4:5]
	s_branch .LBB3_211
.LBB3_214:                              ;   in Loop: Header=BB3_162 Depth=1
	s_or_b64 exec, exec, s[20:21]
	s_mov_b32 s28, 2
	s_mov_b64 s[20:21], -1
	s_orn2_b64 s[4:5], s[26:27], exec
.LBB3_215:                              ;   in Loop: Header=BB3_162 Depth=1
	s_or_b64 exec, exec, s[22:23]
	s_andn2_b64 s[22:23], s[6:7], exec
	s_and_b64 s[4:5], s[4:5], exec
	s_or_b64 s[22:23], s[22:23], s[4:5]
.LBB3_216:                              ;   in Loop: Header=BB3_162 Depth=1
	s_or_saveexec_b64 s[24:25], s[24:25]
	v_mov_b32_e32 v54, s28
	s_xor_b64 exec, exec, s[24:25]
	s_cbranch_execz .LBB3_224
; %bb.217:                              ;   in Loop: Header=BB3_162 Depth=1
	s_mov_b64 s[4:5], -1
                                        ; implicit-def: $sgpr28_sgpr29
                                        ; implicit-def: $sgpr34
	s_and_saveexec_b64 s[26:27], vcc
	s_cbranch_execz .LBB3_223
; %bb.218:                              ;   in Loop: Header=BB3_162 Depth=1
	s_mov_b64 s[28:29], 0
	v_pk_mov_b32 v[0:1], v[46:47], v[46:47] op_sel:[0,1]
	v_mov_b32_e32 v2, v42
                                        ; implicit-def: $sgpr30_sgpr31
                                        ; implicit-def: $sgpr36_sgpr37
                                        ; implicit-def: $sgpr34_sgpr35
	s_branch .LBB3_220
.LBB3_219:                              ;   in Loop: Header=BB3_220 Depth=2
	s_or_b64 exec, exec, s[38:39]
	s_xor_b64 s[4:5], s[34:35], -1
	s_and_b64 s[38:39], exec, s[36:37]
	s_or_b64 s[28:29], s[38:39], s[28:29]
	s_andn2_b64 s[30:31], s[30:31], exec
	s_and_b64 s[4:5], s[4:5], exec
	s_or_b64 s[30:31], s[30:31], s[4:5]
	s_andn2_b64 exec, exec, s[28:29]
	s_cbranch_execz .LBB3_222
.LBB3_220:                              ;   Parent Loop BB3_162 Depth=1
                                        ; =>  This Inner Loop Header: Depth=2
	flat_load_dword v3, v[0:1]
	s_or_b64 s[34:35], s[34:35], exec
	s_or_b64 s[36:37], s[36:37], exec
	s_waitcnt vmcnt(0) lgkmcnt(0)
	v_lshrrev_b32_e32 v5, 1, v3
	v_xor_b32_e32 v3, v5, v3
	v_and_b32_e32 v3, 0x55555555, v3
	v_cmp_eq_u32_e64 s[4:5], 0, v3
	s_and_saveexec_b64 s[38:39], s[4:5]
	s_cbranch_execz .LBB3_219
; %bb.221:                              ;   in Loop: Header=BB3_220 Depth=2
	v_add_co_u32_e64 v0, s[4:5], 4, v0
	v_add_u32_e32 v2, -1, v2
	v_addc_co_u32_e64 v1, s[4:5], 0, v1, s[4:5]
	v_cmp_eq_u32_e64 s[4:5], 0, v2
	s_andn2_b64 s[36:37], s[36:37], exec
	s_and_b64 s[4:5], s[4:5], exec
	s_andn2_b64 s[34:35], s[34:35], exec
	s_or_b64 s[36:37], s[36:37], s[4:5]
	s_branch .LBB3_219
.LBB3_222:                              ;   in Loop: Header=BB3_162 Depth=1
	s_or_b64 exec, exec, s[28:29]
	s_mov_b32 s34, 1
	s_mov_b64 s[28:29], -1
	s_orn2_b64 s[4:5], s[30:31], exec
.LBB3_223:                              ;   in Loop: Header=BB3_162 Depth=1
	s_or_b64 exec, exec, s[26:27]
	s_andn2_b64 s[20:21], s[20:21], exec
	s_and_b64 s[26:27], s[28:29], exec
	s_andn2_b64 s[22:23], s[22:23], exec
	s_and_b64 s[4:5], s[4:5], exec
	v_mov_b32_e32 v54, s34
	s_or_b64 s[20:21], s[20:21], s[26:27]
	s_or_b64 s[22:23], s[22:23], s[4:5]
.LBB3_224:                              ;   in Loop: Header=BB3_162 Depth=1
	s_or_b64 exec, exec, s[24:25]
	s_andn2_b64 s[4:5], s[16:17], exec
	s_and_b64 s[16:17], s[20:21], exec
	s_or_b64 s[16:17], s[4:5], s[16:17]
	s_andn2_b64 s[4:5], s[6:7], exec
	s_and_b64 s[6:7], s[22:23], exec
	s_or_b64 s[6:7], s[4:5], s[6:7]
	s_or_b64 exec, exec, s[18:19]
	s_mov_b64 s[4:5], -1
	s_and_saveexec_b64 s[18:19], s[6:7]
	s_cbranch_execz .LBB3_161
.LBB3_225:                              ;   in Loop: Header=BB3_162 Depth=1
	v_cmp_lt_i32_e64 s[4:5], 2, v4
	s_mov_b64 s[20:21], 0
	s_mov_b64 s[28:29], 0
	;; [unrolled: 1-line block ×3, first 2 shown]
                                        ; implicit-def: $sgpr22_sgpr23
                                        ; implicit-def: $vgpr54
	s_and_saveexec_b64 s[6:7], s[4:5]
	s_xor_b64 s[6:7], exec, s[6:7]
	s_cbranch_execnz .LBB3_230
; %bb.226:                              ;   in Loop: Header=BB3_162 Depth=1
	s_andn2_saveexec_b64 s[6:7], s[6:7]
	s_cbranch_execnz .LBB3_259
.LBB3_227:                              ;   in Loop: Header=BB3_162 Depth=1
	s_or_b64 exec, exec, s[6:7]
	s_and_saveexec_b64 s[26:27], s[28:29]
	s_cbranch_execnz .LBB3_270
.LBB3_228:                              ;   in Loop: Header=BB3_162 Depth=1
	s_or_b64 exec, exec, s[26:27]
	s_and_saveexec_b64 s[4:5], s[20:21]
	s_xor_b64 s[6:7], exec, s[4:5]
	s_cbranch_execnz .LBB3_283
.LBB3_229:                              ;   in Loop: Header=BB3_162 Depth=1
	s_or_b64 exec, exec, s[6:7]
	s_mov_b64 s[4:5], -1
	s_and_saveexec_b64 s[6:7], s[24:25]
	s_cbranch_execz .LBB3_160
	s_branch .LBB3_290
.LBB3_230:                              ;   in Loop: Header=BB3_162 Depth=1
	v_cmp_lt_i32_e64 s[4:5], 3, v4
	s_mov_b64 s[26:27], 0
                                        ; implicit-def: $sgpr30_sgpr31
                                        ; implicit-def: $vgpr54
	s_and_saveexec_b64 s[22:23], s[4:5]
	s_xor_b64 s[22:23], exec, s[22:23]
	s_cbranch_execz .LBB3_250
; %bb.231:                              ;   in Loop: Header=BB3_162 Depth=1
	v_cmp_lt_i32_e64 s[4:5], 4, v4
                                        ; implicit-def: $sgpr24_sgpr25
                                        ; implicit-def: $sgpr36
	s_and_saveexec_b64 s[30:31], s[4:5]
	s_xor_b64 s[30:31], exec, s[30:31]
	s_cbranch_execz .LBB3_241
; %bb.232:                              ;   in Loop: Header=BB3_162 Depth=1
	v_cmp_eq_u32_e64 s[4:5], 5, v4
	s_mov_b64 s[34:35], -1
                                        ; implicit-def: $sgpr24_sgpr25
                                        ; implicit-def: $sgpr36
	s_and_saveexec_b64 s[26:27], s[4:5]
	s_cbranch_execz .LBB3_240
; %bb.233:                              ;   in Loop: Header=BB3_162 Depth=1
	s_mov_b64 s[4:5], -1
                                        ; implicit-def: $sgpr24_sgpr25
                                        ; implicit-def: $sgpr36
	s_and_saveexec_b64 s[28:29], vcc
	s_cbranch_execz .LBB3_239
; %bb.234:                              ;   in Loop: Header=BB3_162 Depth=1
	s_mov_b64 s[24:25], 0
	v_pk_mov_b32 v[0:1], v[44:45], v[44:45] op_sel:[0,1]
	v_mov_b32_e32 v2, v42
                                        ; implicit-def: $sgpr34_sgpr35
                                        ; implicit-def: $sgpr38_sgpr39
                                        ; implicit-def: $sgpr36_sgpr37
	s_branch .LBB3_236
.LBB3_235:                              ;   in Loop: Header=BB3_236 Depth=2
	s_or_b64 exec, exec, s[40:41]
	s_xor_b64 s[4:5], s[36:37], -1
	s_and_b64 s[40:41], exec, s[38:39]
	s_or_b64 s[24:25], s[40:41], s[24:25]
	s_andn2_b64 s[34:35], s[34:35], exec
	s_and_b64 s[4:5], s[4:5], exec
	s_or_b64 s[34:35], s[34:35], s[4:5]
	s_andn2_b64 exec, exec, s[24:25]
	s_cbranch_execz .LBB3_238
.LBB3_236:                              ;   Parent Loop BB3_162 Depth=1
                                        ; =>  This Inner Loop Header: Depth=2
	flat_load_dword v3, v[0:1]
	s_or_b64 s[36:37], s[36:37], exec
	s_or_b64 s[38:39], s[38:39], exec
	s_waitcnt vmcnt(0) lgkmcnt(0)
	v_cmp_eq_u32_sdwa s[4:5], v3, v3 src0_sel:WORD_0 src1_sel:WORD_1
	s_and_saveexec_b64 s[40:41], s[4:5]
	s_cbranch_execz .LBB3_235
; %bb.237:                              ;   in Loop: Header=BB3_236 Depth=2
	v_add_co_u32_e64 v0, s[4:5], 4, v0
	v_add_u32_e32 v2, -1, v2
	v_addc_co_u32_e64 v1, s[4:5], 0, v1, s[4:5]
	v_cmp_eq_u32_e64 s[4:5], 0, v2
	s_andn2_b64 s[38:39], s[38:39], exec
	s_and_b64 s[4:5], s[4:5], exec
	s_andn2_b64 s[36:37], s[36:37], exec
	s_or_b64 s[38:39], s[38:39], s[4:5]
	s_branch .LBB3_235
.LBB3_238:                              ;   in Loop: Header=BB3_162 Depth=1
	s_or_b64 exec, exec, s[24:25]
	s_mov_b32 s36, 5
	s_mov_b64 s[24:25], -1
	s_orn2_b64 s[4:5], s[34:35], exec
.LBB3_239:                              ;   in Loop: Header=BB3_162 Depth=1
	s_or_b64 exec, exec, s[28:29]
	s_and_b64 s[28:29], s[4:5], exec
	s_xor_b64 s[34:35], exec, -1
.LBB3_240:                              ;   in Loop: Header=BB3_162 Depth=1
	s_or_b64 exec, exec, s[26:27]
	s_and_b64 s[28:29], s[28:29], exec
	s_and_b64 s[26:27], s[34:35], exec
.LBB3_241:                              ;   in Loop: Header=BB3_162 Depth=1
	s_or_saveexec_b64 s[30:31], s[30:31]
	v_mov_b32_e32 v54, s36
	s_xor_b64 exec, exec, s[30:31]
	s_cbranch_execz .LBB3_249
; %bb.242:                              ;   in Loop: Header=BB3_162 Depth=1
	s_mov_b64 s[4:5], -1
                                        ; implicit-def: $sgpr36_sgpr37
                                        ; implicit-def: $sgpr40
	s_and_saveexec_b64 s[34:35], vcc
	s_cbranch_execz .LBB3_248
; %bb.243:                              ;   in Loop: Header=BB3_162 Depth=1
	s_mov_b64 s[36:37], 0
	v_pk_mov_b32 v[0:1], v[44:45], v[44:45] op_sel:[0,1]
	v_mov_b32_e32 v2, v42
                                        ; implicit-def: $sgpr38_sgpr39
                                        ; implicit-def: $sgpr42_sgpr43
                                        ; implicit-def: $sgpr40_sgpr41
	s_branch .LBB3_245
.LBB3_244:                              ;   in Loop: Header=BB3_245 Depth=2
	s_or_b64 exec, exec, s[44:45]
	s_xor_b64 s[4:5], s[40:41], -1
	s_and_b64 s[44:45], exec, s[42:43]
	s_or_b64 s[36:37], s[44:45], s[36:37]
	s_andn2_b64 s[38:39], s[38:39], exec
	s_and_b64 s[4:5], s[4:5], exec
	s_or_b64 s[38:39], s[38:39], s[4:5]
	s_andn2_b64 exec, exec, s[36:37]
	s_cbranch_execz .LBB3_247
.LBB3_245:                              ;   Parent Loop BB3_162 Depth=1
                                        ; =>  This Inner Loop Header: Depth=2
	flat_load_dword v3, v[0:1]
	s_or_b64 s[40:41], s[40:41], exec
	s_or_b64 s[42:43], s[42:43], exec
	s_waitcnt vmcnt(0) lgkmcnt(0)
	v_lshrrev_b32_e32 v5, 8, v3
	v_xor_b32_e32 v3, v5, v3
	v_and_b32_e32 v3, 0xff00ff, v3
	v_cmp_eq_u32_e64 s[4:5], 0, v3
	s_and_saveexec_b64 s[44:45], s[4:5]
	s_cbranch_execz .LBB3_244
; %bb.246:                              ;   in Loop: Header=BB3_245 Depth=2
	v_add_co_u32_e64 v0, s[4:5], 4, v0
	v_add_u32_e32 v2, -1, v2
	v_addc_co_u32_e64 v1, s[4:5], 0, v1, s[4:5]
	v_cmp_eq_u32_e64 s[4:5], 0, v2
	s_andn2_b64 s[42:43], s[42:43], exec
	s_and_b64 s[4:5], s[4:5], exec
	s_andn2_b64 s[40:41], s[40:41], exec
	s_or_b64 s[42:43], s[42:43], s[4:5]
	s_branch .LBB3_244
.LBB3_247:                              ;   in Loop: Header=BB3_162 Depth=1
	s_or_b64 exec, exec, s[36:37]
	s_mov_b32 s40, 4
	s_mov_b64 s[36:37], -1
	s_orn2_b64 s[4:5], s[38:39], exec
.LBB3_248:                              ;   in Loop: Header=BB3_162 Depth=1
	s_or_b64 exec, exec, s[34:35]
	s_andn2_b64 s[24:25], s[24:25], exec
	s_and_b64 s[34:35], s[36:37], exec
	s_andn2_b64 s[28:29], s[28:29], exec
	s_and_b64 s[4:5], s[4:5], exec
	v_mov_b32_e32 v54, s40
	s_or_b64 s[24:25], s[24:25], s[34:35]
	s_or_b64 s[28:29], s[28:29], s[4:5]
.LBB3_249:                              ;   in Loop: Header=BB3_162 Depth=1
	s_or_b64 exec, exec, s[30:31]
	s_and_b64 s[30:31], s[24:25], exec
	s_and_b64 s[24:25], s[28:29], exec
	;; [unrolled: 1-line block ×3, first 2 shown]
.LBB3_250:                              ;   in Loop: Header=BB3_162 Depth=1
	s_andn2_saveexec_b64 s[22:23], s[22:23]
	s_cbranch_execz .LBB3_258
; %bb.251:                              ;   in Loop: Header=BB3_162 Depth=1
	s_mov_b64 s[4:5], -1
                                        ; implicit-def: $sgpr34_sgpr35
                                        ; implicit-def: $sgpr38
	s_and_saveexec_b64 s[28:29], vcc
	s_cbranch_execz .LBB3_257
; %bb.252:                              ;   in Loop: Header=BB3_162 Depth=1
	s_mov_b64 s[34:35], 0
	v_pk_mov_b32 v[0:1], v[44:45], v[44:45] op_sel:[0,1]
	v_mov_b32_e32 v2, v42
                                        ; implicit-def: $sgpr36_sgpr37
                                        ; implicit-def: $sgpr40_sgpr41
                                        ; implicit-def: $sgpr38_sgpr39
	s_branch .LBB3_254
.LBB3_253:                              ;   in Loop: Header=BB3_254 Depth=2
	s_or_b64 exec, exec, s[42:43]
	s_xor_b64 s[4:5], s[38:39], -1
	s_and_b64 s[42:43], exec, s[40:41]
	s_or_b64 s[34:35], s[42:43], s[34:35]
	s_andn2_b64 s[36:37], s[36:37], exec
	s_and_b64 s[4:5], s[4:5], exec
	s_or_b64 s[36:37], s[36:37], s[4:5]
	s_andn2_b64 exec, exec, s[34:35]
	s_cbranch_execz .LBB3_256
.LBB3_254:                              ;   Parent Loop BB3_162 Depth=1
                                        ; =>  This Inner Loop Header: Depth=2
	flat_load_dword v3, v[0:1]
	s_or_b64 s[38:39], s[38:39], exec
	s_or_b64 s[40:41], s[40:41], exec
	s_waitcnt vmcnt(0) lgkmcnt(0)
	v_lshrrev_b32_e32 v5, 4, v3
	v_xor_b32_e32 v3, v5, v3
	v_and_b32_e32 v3, 0xf0f0f0f, v3
	v_cmp_eq_u32_e64 s[4:5], 0, v3
	s_and_saveexec_b64 s[42:43], s[4:5]
	s_cbranch_execz .LBB3_253
; %bb.255:                              ;   in Loop: Header=BB3_254 Depth=2
	v_add_co_u32_e64 v0, s[4:5], 4, v0
	v_add_u32_e32 v2, -1, v2
	v_addc_co_u32_e64 v1, s[4:5], 0, v1, s[4:5]
	v_cmp_eq_u32_e64 s[4:5], 0, v2
	s_andn2_b64 s[40:41], s[40:41], exec
	s_and_b64 s[4:5], s[4:5], exec
	s_andn2_b64 s[38:39], s[38:39], exec
	s_or_b64 s[40:41], s[40:41], s[4:5]
	s_branch .LBB3_253
.LBB3_256:                              ;   in Loop: Header=BB3_162 Depth=1
	s_or_b64 exec, exec, s[34:35]
	s_mov_b32 s38, 3
	s_mov_b64 s[34:35], -1
	s_orn2_b64 s[4:5], s[36:37], exec
.LBB3_257:                              ;   in Loop: Header=BB3_162 Depth=1
	s_or_b64 exec, exec, s[28:29]
	s_andn2_b64 s[28:29], s[30:31], exec
	s_and_b64 s[30:31], s[34:35], exec
	s_andn2_b64 s[24:25], s[24:25], exec
	s_and_b64 s[4:5], s[4:5], exec
	v_mov_b32_e32 v54, s38
	s_or_b64 s[30:31], s[28:29], s[30:31]
	s_or_b64 s[24:25], s[24:25], s[4:5]
.LBB3_258:                              ;   in Loop: Header=BB3_162 Depth=1
	s_or_b64 exec, exec, s[22:23]
	s_and_b64 s[22:23], s[30:31], exec
	s_and_b64 s[24:25], s[24:25], exec
	;; [unrolled: 1-line block ×3, first 2 shown]
	s_andn2_saveexec_b64 s[6:7], s[6:7]
	s_cbranch_execz .LBB3_227
.LBB3_259:                              ;   in Loop: Header=BB3_162 Depth=1
	v_cmp_lt_i32_e64 s[4:5], 1, v4
	s_mov_b64 s[26:27], s[24:25]
                                        ; implicit-def: $sgpr30_sgpr31
                                        ; implicit-def: $sgpr36
	s_and_saveexec_b64 s[20:21], s[4:5]
	s_xor_b64 s[20:21], exec, s[20:21]
	s_cbranch_execz .LBB3_267
; %bb.260:                              ;   in Loop: Header=BB3_162 Depth=1
	s_mov_b64 s[4:5], -1
                                        ; implicit-def: $sgpr30_sgpr31
                                        ; implicit-def: $sgpr36
	s_and_saveexec_b64 s[26:27], vcc
	s_cbranch_execz .LBB3_266
; %bb.261:                              ;   in Loop: Header=BB3_162 Depth=1
	s_mov_b64 s[30:31], 0
	v_pk_mov_b32 v[0:1], v[44:45], v[44:45] op_sel:[0,1]
	v_mov_b32_e32 v2, v42
                                        ; implicit-def: $sgpr34_sgpr35
                                        ; implicit-def: $sgpr38_sgpr39
                                        ; implicit-def: $sgpr36_sgpr37
	s_branch .LBB3_263
.LBB3_262:                              ;   in Loop: Header=BB3_263 Depth=2
	s_or_b64 exec, exec, s[40:41]
	s_xor_b64 s[4:5], s[36:37], -1
	s_and_b64 s[40:41], exec, s[38:39]
	s_or_b64 s[30:31], s[40:41], s[30:31]
	s_andn2_b64 s[34:35], s[34:35], exec
	s_and_b64 s[4:5], s[4:5], exec
	s_or_b64 s[34:35], s[34:35], s[4:5]
	s_andn2_b64 exec, exec, s[30:31]
	s_cbranch_execz .LBB3_265
.LBB3_263:                              ;   Parent Loop BB3_162 Depth=1
                                        ; =>  This Inner Loop Header: Depth=2
	flat_load_dword v3, v[0:1]
	s_or_b64 s[36:37], s[36:37], exec
	s_or_b64 s[38:39], s[38:39], exec
	s_waitcnt vmcnt(0) lgkmcnt(0)
	v_lshrrev_b32_e32 v5, 2, v3
	v_xor_b32_e32 v3, v5, v3
	v_and_b32_e32 v3, 0x33333333, v3
	v_cmp_eq_u32_e64 s[4:5], 0, v3
	s_and_saveexec_b64 s[40:41], s[4:5]
	s_cbranch_execz .LBB3_262
; %bb.264:                              ;   in Loop: Header=BB3_263 Depth=2
	v_add_co_u32_e64 v0, s[4:5], 4, v0
	v_add_u32_e32 v2, -1, v2
	v_addc_co_u32_e64 v1, s[4:5], 0, v1, s[4:5]
	v_cmp_eq_u32_e64 s[4:5], 0, v2
	s_andn2_b64 s[38:39], s[38:39], exec
	s_and_b64 s[4:5], s[4:5], exec
	s_andn2_b64 s[36:37], s[36:37], exec
	s_or_b64 s[38:39], s[38:39], s[4:5]
	s_branch .LBB3_262
.LBB3_265:                              ;   in Loop: Header=BB3_162 Depth=1
	s_or_b64 exec, exec, s[30:31]
	s_mov_b32 s36, 2
	s_mov_b64 s[30:31], -1
	s_orn2_b64 s[4:5], s[34:35], exec
.LBB3_266:                              ;   in Loop: Header=BB3_162 Depth=1
	s_or_b64 exec, exec, s[26:27]
	s_andn2_b64 s[26:27], s[24:25], exec
	s_and_b64 s[4:5], s[4:5], exec
	s_or_b64 s[26:27], s[26:27], s[4:5]
.LBB3_267:                              ;   in Loop: Header=BB3_162 Depth=1
	s_or_saveexec_b64 s[34:35], s[20:21]
	s_mov_b64 s[20:21], 0
	s_mov_b64 s[4:5], s[28:29]
	s_xor_b64 exec, exec, s[34:35]
; %bb.268:                              ;   in Loop: Header=BB3_162 Depth=1
	v_cmp_ne_u32_e64 s[4:5], 1, v4
	s_andn2_b64 s[30:31], s[28:29], exec
	s_and_b64 s[4:5], s[4:5], exec
	s_mov_b64 s[20:21], exec
	s_or_b64 s[4:5], s[30:31], s[4:5]
                                        ; implicit-def: $sgpr30_sgpr31
                                        ; implicit-def: $sgpr36
; %bb.269:                              ;   in Loop: Header=BB3_162 Depth=1
	s_or_b64 exec, exec, s[34:35]
	s_andn2_b64 s[24:25], s[24:25], exec
	s_and_b64 s[26:27], s[26:27], exec
	s_andn2_b64 s[22:23], s[22:23], exec
	s_and_b64 s[30:31], s[30:31], exec
	s_or_b64 s[24:25], s[24:25], s[26:27]
	s_andn2_b64 s[26:27], s[28:29], exec
	s_and_b64 s[4:5], s[4:5], exec
	v_mov_b32_e32 v54, s36
	s_or_b64 s[22:23], s[22:23], s[30:31]
	s_and_b64 s[20:21], s[20:21], exec
	s_or_b64 s[28:29], s[26:27], s[4:5]
	s_or_b64 exec, exec, s[6:7]
	s_and_saveexec_b64 s[26:27], s[28:29]
	s_cbranch_execz .LBB3_228
.LBB3_270:                              ;   in Loop: Header=BB3_162 Depth=1
	s_mov_b64 s[4:5], -1
                                        ; implicit-def: $sgpr6_sgpr7
	s_and_saveexec_b64 s[28:29], vcc
	s_cbranch_execz .LBB3_282
; %bb.271:                              ;   in Loop: Header=BB3_162 Depth=1
	v_add_u32_e32 v0, -6, v4
	v_lshlrev_b32_e64 v2, v0, 1
	v_cmp_ne_u32_e64 s[4:5], 31, v0
	v_lshlrev_b32_e64 v0, v0, 2
	v_ashrrev_i32_e32 v1, 31, v0
	v_ashrrev_i32_e32 v3, 31, v2
	v_max_i32_e32 v5, 1, v2
	v_lshlrev_b64 v[2:3], 2, v[2:3]
	v_lshlrev_b64 v[6:7], 2, v[0:1]
	s_mov_b64 s[30:31], 0
	v_mov_b32_e32 v1, 0
	v_pk_mov_b32 v[8:9], v[44:45], v[44:45] op_sel:[0,1]
                                        ; implicit-def: $sgpr34_sgpr35
                                        ; implicit-def: $sgpr36_sgpr37
	s_branch .LBB3_273
.LBB3_272:                              ;   in Loop: Header=BB3_273 Depth=2
	s_or_b64 exec, exec, s[40:41]
	s_xor_b64 s[6:7], s[42:43], -1
	s_and_b64 s[38:39], exec, s[38:39]
	s_or_b64 s[30:31], s[38:39], s[30:31]
	s_andn2_b64 s[36:37], s[36:37], exec
	s_and_b64 s[38:39], s[42:43], exec
	s_andn2_b64 s[34:35], s[34:35], exec
	s_and_b64 s[6:7], s[6:7], exec
	s_or_b64 s[36:37], s[36:37], s[38:39]
	s_or_b64 s[34:35], s[34:35], s[6:7]
	s_andn2_b64 exec, exec, s[30:31]
	s_cbranch_execz .LBB3_281
.LBB3_273:                              ;   Parent Loop BB3_162 Depth=1
                                        ; =>  This Loop Header: Depth=2
                                        ;       Child Loop BB3_276 Depth 3
	s_mov_b64 s[38:39], -1
	s_mov_b64 s[6:7], -1
                                        ; implicit-def: $sgpr42_sgpr43
	s_and_saveexec_b64 s[40:41], s[4:5]
	s_cbranch_execz .LBB3_279
; %bb.274:                              ;   in Loop: Header=BB3_273 Depth=2
	s_mov_b64 s[42:43], 0
	v_pk_mov_b32 v[10:11], v[8:9], v[8:9] op_sel:[0,1]
	v_mov_b32_e32 v12, v5
                                        ; implicit-def: $sgpr44_sgpr45
                                        ; implicit-def: $sgpr48_sgpr49
                                        ; implicit-def: $sgpr46_sgpr47
	s_branch .LBB3_276
.LBB3_275:                              ;   in Loop: Header=BB3_276 Depth=3
	s_or_b64 exec, exec, s[50:51]
	s_xor_b64 s[6:7], s[46:47], -1
	s_and_b64 s[50:51], exec, s[48:49]
	s_or_b64 s[42:43], s[50:51], s[42:43]
	s_andn2_b64 s[44:45], s[44:45], exec
	s_and_b64 s[6:7], s[6:7], exec
	s_or_b64 s[44:45], s[44:45], s[6:7]
	s_andn2_b64 exec, exec, s[42:43]
	s_cbranch_execz .LBB3_278
.LBB3_276:                              ;   Parent Loop BB3_162 Depth=1
                                        ;     Parent Loop BB3_273 Depth=2
                                        ; =>    This Inner Loop Header: Depth=3
	v_add_co_u32_e64 v14, s[6:7], v10, v2
	v_addc_co_u32_e64 v15, s[6:7], v11, v3, s[6:7]
	flat_load_dword v13, v[10:11]
	s_nop 0
	flat_load_dword v14, v[14:15]
	s_or_b64 s[46:47], s[46:47], exec
	s_or_b64 s[48:49], s[48:49], exec
	s_waitcnt vmcnt(0) lgkmcnt(0)
	v_cmp_eq_u32_e64 s[6:7], v13, v14
	s_and_saveexec_b64 s[50:51], s[6:7]
	s_cbranch_execz .LBB3_275
; %bb.277:                              ;   in Loop: Header=BB3_276 Depth=3
	v_add_co_u32_e64 v10, s[6:7], 4, v10
	v_add_u32_e32 v12, -1, v12
	v_addc_co_u32_e64 v11, s[6:7], 0, v11, s[6:7]
	v_cmp_eq_u32_e64 s[6:7], 0, v12
	s_andn2_b64 s[48:49], s[48:49], exec
	s_and_b64 s[6:7], s[6:7], exec
	s_andn2_b64 s[46:47], s[46:47], exec
	s_or_b64 s[48:49], s[48:49], s[6:7]
	s_branch .LBB3_275
.LBB3_278:                              ;   in Loop: Header=BB3_273 Depth=2
	s_or_b64 exec, exec, s[42:43]
	s_mov_b64 s[42:43], -1
	s_orn2_b64 s[6:7], s[44:45], exec
.LBB3_279:                              ;   in Loop: Header=BB3_273 Depth=2
	s_or_b64 exec, exec, s[40:41]
	s_and_saveexec_b64 s[40:41], s[6:7]
	s_cbranch_execz .LBB3_272
; %bb.280:                              ;   in Loop: Header=BB3_273 Depth=2
	v_add_co_u32_e64 v8, s[6:7], v8, v6
	v_add_u32_e32 v1, v1, v0
	v_addc_co_u32_e64 v9, s[6:7], v9, v7, s[6:7]
	v_cmp_ge_i32_e64 s[6:7], v1, v42
	s_andn2_b64 s[42:43], s[42:43], exec
	s_orn2_b64 s[38:39], s[6:7], exec
	s_branch .LBB3_272
.LBB3_281:                              ;   in Loop: Header=BB3_162 Depth=1
	s_or_b64 exec, exec, s[30:31]
	s_and_b64 s[6:7], s[36:37], exec
	s_orn2_b64 s[4:5], s[34:35], exec
.LBB3_282:                              ;   in Loop: Header=BB3_162 Depth=1
	s_or_b64 exec, exec, s[28:29]
	s_andn2_b64 s[22:23], s[22:23], exec
	s_and_b64 s[6:7], s[6:7], exec
	s_or_b64 s[22:23], s[22:23], s[6:7]
	s_andn2_b64 s[6:7], s[24:25], exec
	s_and_b64 s[4:5], s[4:5], exec
	s_or_b64 s[24:25], s[6:7], s[4:5]
	s_andn2_b64 s[20:21], s[20:21], exec
	v_mov_b32_e32 v54, v4
	s_or_b64 exec, exec, s[26:27]
	s_and_saveexec_b64 s[4:5], s[20:21]
	s_xor_b64 s[6:7], exec, s[4:5]
	s_cbranch_execz .LBB3_229
.LBB3_283:                              ;   in Loop: Header=BB3_162 Depth=1
	s_mov_b64 s[4:5], -1
                                        ; implicit-def: $sgpr26_sgpr27
                                        ; implicit-def: $sgpr30
	s_and_saveexec_b64 s[20:21], vcc
	s_cbranch_execz .LBB3_289
; %bb.284:                              ;   in Loop: Header=BB3_162 Depth=1
	s_mov_b64 s[26:27], 0
	v_pk_mov_b32 v[0:1], v[44:45], v[44:45] op_sel:[0,1]
	v_mov_b32_e32 v2, v42
                                        ; implicit-def: $sgpr28_sgpr29
                                        ; implicit-def: $sgpr34_sgpr35
                                        ; implicit-def: $sgpr30_sgpr31
	s_branch .LBB3_286
.LBB3_285:                              ;   in Loop: Header=BB3_286 Depth=2
	s_or_b64 exec, exec, s[36:37]
	s_xor_b64 s[4:5], s[30:31], -1
	s_and_b64 s[36:37], exec, s[34:35]
	s_or_b64 s[26:27], s[36:37], s[26:27]
	s_andn2_b64 s[28:29], s[28:29], exec
	s_and_b64 s[4:5], s[4:5], exec
	s_or_b64 s[28:29], s[28:29], s[4:5]
	s_andn2_b64 exec, exec, s[26:27]
	s_cbranch_execz .LBB3_288
.LBB3_286:                              ;   Parent Loop BB3_162 Depth=1
                                        ; =>  This Inner Loop Header: Depth=2
	flat_load_dword v3, v[0:1]
	s_or_b64 s[30:31], s[30:31], exec
	s_or_b64 s[34:35], s[34:35], exec
	s_waitcnt vmcnt(0) lgkmcnt(0)
	v_lshrrev_b32_e32 v5, 1, v3
	v_xor_b32_e32 v3, v5, v3
	v_and_b32_e32 v3, 0x55555555, v3
	v_cmp_eq_u32_e64 s[4:5], 0, v3
	s_and_saveexec_b64 s[36:37], s[4:5]
	s_cbranch_execz .LBB3_285
; %bb.287:                              ;   in Loop: Header=BB3_286 Depth=2
	v_add_co_u32_e64 v0, s[4:5], 4, v0
	v_add_u32_e32 v2, -1, v2
	v_addc_co_u32_e64 v1, s[4:5], 0, v1, s[4:5]
	v_cmp_eq_u32_e64 s[4:5], 0, v2
	s_andn2_b64 s[34:35], s[34:35], exec
	s_and_b64 s[4:5], s[4:5], exec
	s_andn2_b64 s[30:31], s[30:31], exec
	s_or_b64 s[34:35], s[34:35], s[4:5]
	s_branch .LBB3_285
.LBB3_288:                              ;   in Loop: Header=BB3_162 Depth=1
	s_or_b64 exec, exec, s[26:27]
	s_mov_b32 s30, 1
	s_mov_b64 s[26:27], -1
	s_orn2_b64 s[4:5], s[28:29], exec
.LBB3_289:                              ;   in Loop: Header=BB3_162 Depth=1
	s_or_b64 exec, exec, s[20:21]
	s_andn2_b64 s[20:21], s[22:23], exec
	s_and_b64 s[22:23], s[26:27], exec
	s_or_b64 s[22:23], s[20:21], s[22:23]
	s_andn2_b64 s[20:21], s[24:25], exec
	s_and_b64 s[4:5], s[4:5], exec
	v_mov_b32_e32 v54, s30
	s_or_b64 s[24:25], s[20:21], s[4:5]
	s_or_b64 exec, exec, s[6:7]
	s_mov_b64 s[4:5], -1
	s_and_saveexec_b64 s[6:7], s[24:25]
	s_cbranch_execz .LBB3_160
.LBB3_290:                              ;   in Loop: Header=BB3_162 Depth=1
	v_cmp_gt_i32_e64 s[4:5], 2, v4
	s_andn2_b64 s[22:23], s[22:23], exec
	s_orn2_b64 s[4:5], s[4:5], exec
                                        ; implicit-def: $vgpr54
	s_branch .LBB3_160
.LBB3_291:
	s_or_b64 exec, exec, s[14:15]
	s_mov_b64 s[28:29], exec
	s_and_b64 s[90:91], vcc, exec
	s_orn2_b64 s[4:5], s[12:13], exec
.LBB3_292:
	s_or_b64 exec, exec, s[10:11]
	s_mov_b64 s[96:97], s[86:87]
	s_and_saveexec_b64 s[34:35], s[4:5]
	s_cbranch_execz .LBB3_294
; %bb.293:
	s_getpc_b64 s[4:5]
	s_add_u32 s4, s4, .str.21@rel32@lo+4
	s_addc_u32 s5, s5, .str.21@rel32@hi+12
	s_getpc_b64 s[6:7]
	s_add_u32 s6, s6, .str.16@rel32@lo+4
	s_addc_u32 s7, s7, .str.16@rel32@hi+12
	s_getpc_b64 s[10:11]
	s_add_u32 s10, s10, __PRETTY_FUNCTION__._ZN3sop13minatoIsopRecEPKjS1_iPNS_3SopEP7VecsMemIjLi8192EE@rel32@lo+4
	s_addc_u32 s11, s11, __PRETTY_FUNCTION__._ZN3sop13minatoIsopRecEPKjS1_iPNS_3SopEP7VecsMemIjLi8192EE@rel32@hi+12
	v_mov_b32_e32 v0, s4
	v_mov_b32_e32 v1, s5
	;; [unrolled: 1-line block ×7, first 2 shown]
	s_getpc_b64 s[12:13]
	s_add_u32 s12, s12, __assert_fail@rel32@lo+4
	s_addc_u32 s13, s13, __assert_fail@rel32@hi+12
	s_mov_b64 s[26:27], s[8:9]
	s_swappc_b64 s[30:31], s[12:13]
	s_mov_b64 s[8:9], s[26:27]
	s_or_b64 s[96:97], s[86:87], exec
	s_andn2_b64 s[28:29], s[28:29], exec
.LBB3_294:
	s_or_b64 exec, exec, s[34:35]
	s_mov_b64 s[4:5], 0
	s_mov_b64 s[6:7], exec
	v_writelane_b32 v61, s6, 4
	v_writelane_b32 v61, s7, 5
	s_and_b64 s[6:7], s[6:7], s[28:29]
	s_mov_b64 exec, s[6:7]
	s_cbranch_execz .LBB3_506
; %bb.295:
	v_writelane_b32 v61, s96, 2
	v_cmp_lt_i32_e32 vcc, 5, v54
	s_mov_b64 s[94:95], 0
	v_writelane_b32 v61, s97, 3
	s_and_saveexec_b64 s[4:5], vcc
	s_xor_b64 s[38:39], exec, s[4:5]
	s_cbranch_execz .LBB3_496
; %bb.296:
	v_add_u32_e32 v43, -6, v54
	v_lshlrev_b32_e64 v0, v43, 1
	v_ashrrev_i32_e32 v1, 31, v0
	v_cmp_ne_u32_e64 s[36:37], 31, v43
	v_accvgpr_write_b32 a36, v0
	v_lshlrev_b64 v[10:11], 2, v[0:1]
	s_and_saveexec_b64 s[4:5], s[36:37]
	s_cbranch_execz .LBB3_299
; %bb.297:
	v_accvgpr_read_b32 v0, a36
	v_add_u32_e32 v6, 1, v0
	v_add_u32_e32 v0, -1, v0
	v_mov_b32_e32 v1, 0
	v_lshlrev_b64 v[4:5], 2, v[0:1]
	v_accvgpr_read_b32 v0, a32
	v_accvgpr_read_b32 v1, a33
	v_add_co_u32_e32 v0, vcc, v0, v4
	v_addc_co_u32_e32 v1, vcc, v1, v5, vcc
	v_add_co_u32_e32 v2, vcc, v10, v4
	v_addc_co_u32_e32 v3, vcc, v11, v5, vcc
	;; [unrolled: 2-line block ×4, first 2 shown]
	s_mov_b64 s[6:7], 0
.LBB3_298:                              ; =>This Inner Loop Header: Depth=1
	flat_load_dword v7, v[2:3]
	flat_load_dword v8, v[4:5]
	v_add_co_u32_e32 v2, vcc, -4, v2
	v_addc_co_u32_e32 v3, vcc, -1, v3, vcc
	v_add_co_u32_e32 v4, vcc, -4, v4
	v_add_u32_e32 v6, -1, v6
	v_addc_co_u32_e32 v5, vcc, -1, v5, vcc
	v_cmp_gt_u32_e32 vcc, 2, v6
	s_or_b64 s[6:7], vcc, s[6:7]
	s_waitcnt vmcnt(0) lgkmcnt(0)
	v_not_b32_e32 v7, v7
	v_and_b32_e32 v7, v8, v7
	flat_store_dword v[0:1], v7
	v_add_co_u32_e32 v0, vcc, -4, v0
	v_addc_co_u32_e32 v1, vcc, -1, v1, vcc
	s_andn2_b64 exec, exec, s[6:7]
	s_cbranch_execnz .LBB3_298
.LBB3_299:
	s_or_b64 exec, exec, s[4:5]
	s_mov_b64 s[4:5], src_private_base
	v_accvgpr_read_b32 v0, a32
	v_lshrrev_b32_e64 v5, 6, s33
	v_readlane_b32 s46, v61, 2
	v_accvgpr_write_b32 a35, v11
	v_accvgpr_read_b32 v1, a33
	v_mov_b32_e32 v2, v44
	v_mov_b32_e32 v3, v45
	;; [unrolled: 1-line block ×3, first 2 shown]
	v_add_u32_e32 v5, 0x58, v5
	v_mov_b32_e32 v6, s5
	v_mov_b32_e32 v7, v56
	;; [unrolled: 1-line block ×3, first 2 shown]
	v_readlane_b32 s47, v61, 3
	v_accvgpr_write_b32 a34, v10
	s_getpc_b64 s[6:7]
	s_add_u32 s6, s6, _ZN3sop13minatoIsopRecEPKjS1_iPNS_3SopEP7VecsMemIjLi8192EE@rel32@lo+4
	s_addc_u32 s7, s7, _ZN3sop13minatoIsopRecEPKjS1_iPNS_3SopEP7VecsMemIjLi8192EE@rel32@hi+12
	s_mov_b64 s[34:35], s[8:9]
	s_swappc_b64 s[30:31], s[6:7]
	v_accvgpr_write_b32 a37, v0
	v_accvgpr_write_b32 a38, v1
	s_mov_b64 s[4:5], exec
	v_accvgpr_read_b32 v10, a34
	s_and_b64 s[6:7], s[4:5], s[36:37]
	v_accvgpr_read_b32 v11, a35
	s_mov_b64 exec, s[6:7]
	s_cbranch_execz .LBB3_302
; %bb.300:
	v_accvgpr_read_b32 v0, a36
	v_add_u32_e32 v6, 1, v0
	v_add_u32_e32 v0, -1, v0
	v_mov_b32_e32 v1, 0
	v_lshlrev_b64 v[2:3], 2, v[0:1]
	v_add_co_u32_e32 v4, vcc, v10, v2
	v_addc_co_u32_e32 v5, vcc, v11, v3, vcc
	v_accvgpr_read_b32 v0, a32
	v_accvgpr_read_b32 v1, a33
	v_add_co_u32_e32 v0, vcc, v0, v4
	v_addc_co_u32_e32 v1, vcc, v1, v5, vcc
	v_add_co_u32_e32 v2, vcc, v44, v2
	v_addc_co_u32_e32 v3, vcc, v45, v3, vcc
	;; [unrolled: 2-line block ×3, first 2 shown]
	s_mov_b64 s[6:7], 0
.LBB3_301:                              ; =>This Inner Loop Header: Depth=1
	flat_load_dword v7, v[2:3]
	flat_load_dword v8, v[4:5]
	v_add_co_u32_e32 v2, vcc, -4, v2
	v_addc_co_u32_e32 v3, vcc, -1, v3, vcc
	v_add_co_u32_e32 v4, vcc, -4, v4
	v_add_u32_e32 v6, -1, v6
	v_addc_co_u32_e32 v5, vcc, -1, v5, vcc
	v_cmp_gt_u32_e32 vcc, 2, v6
	s_or_b64 s[6:7], vcc, s[6:7]
	s_waitcnt vmcnt(0) lgkmcnt(0)
	v_not_b32_e32 v7, v7
	v_and_b32_e32 v7, v8, v7
	flat_store_dword v[0:1], v7
	v_add_co_u32_e32 v0, vcc, -4, v0
	v_addc_co_u32_e32 v1, vcc, -1, v1, vcc
	s_andn2_b64 exec, exec, s[6:7]
	s_cbranch_execnz .LBB3_301
.LBB3_302:
	s_or_b64 exec, exec, s[4:5]
	v_add_co_u32_e32 v2, vcc, v44, v10
	v_addc_co_u32_e32 v3, vcc, v45, v11, vcc
	v_accvgpr_read_b32 v0, a32
	v_accvgpr_read_b32 v1, a33
	v_add_co_u32_e32 v40, vcc, v0, v10
	v_addc_co_u32_e32 v60, vcc, v1, v11, vcc
	s_mov_b64 s[4:5], src_private_base
	v_lshrrev_b32_e64 v5, 6, s33
	s_mov_b64 s[8:9], s[34:35]
	v_mov_b32_e32 v0, v40
	v_mov_b32_e32 v1, v60
	;; [unrolled: 1-line block ×3, first 2 shown]
	v_add_u32_e32 v5, 0x68, v5
	v_mov_b32_e32 v6, s5
	v_mov_b32_e32 v7, v56
	v_mov_b32_e32 v8, v57
	s_getpc_b64 s[6:7]
	s_add_u32 s6, s6, _ZN3sop13minatoIsopRecEPKjS1_iPNS_3SopEP7VecsMemIjLi8192EE@rel32@lo+4
	s_addc_u32 s7, s7, _ZN3sop13minatoIsopRecEPKjS1_iPNS_3SopEP7VecsMemIjLi8192EE@rel32@hi+12
	s_swappc_b64 s[30:31], s[6:7]
	v_accvgpr_read_b32 v16, a34
	v_accvgpr_read_b32 v17, a35
	s_and_saveexec_b64 s[4:5], s[36:37]
	s_cbranch_execz .LBB3_311
; %bb.303:
	v_accvgpr_read_b32 v2, a36
	v_add_u32_e32 v12, 1, v2
	v_add_u32_e32 v2, -1, v2
	v_mov_b32_e32 v3, 0
	v_lshlrev_b64 v[18:19], 2, v[2:3]
	v_accvgpr_read_b32 v2, a32
	v_accvgpr_read_b32 v3, a33
	v_add_co_u32_e32 v2, vcc, v2, v18
	v_addc_co_u32_e32 v3, vcc, v3, v19, vcc
	v_accvgpr_read_b32 v4, a37
	v_add_co_u32_e32 v4, vcc, v4, v18
	v_accvgpr_read_b32 v5, a38
	v_addc_co_u32_e32 v5, vcc, v5, v19, vcc
	v_add_co_u32_e32 v6, vcc, v46, v18
	v_addc_co_u32_e32 v7, vcc, v47, v19, vcc
	s_mov_b64 s[6:7], 0
	v_pk_mov_b32 v[8:9], v[2:3], v[2:3] op_sel:[0,1]
	v_mov_b32_e32 v10, v12
.LBB3_304:                              ; =>This Inner Loop Header: Depth=1
	flat_load_dword v11, v[4:5]
	flat_load_dword v13, v[6:7]
	v_add_co_u32_e32 v4, vcc, -4, v4
	v_addc_co_u32_e32 v5, vcc, -1, v5, vcc
	v_add_co_u32_e32 v6, vcc, -4, v6
	v_add_u32_e32 v10, -1, v10
	v_addc_co_u32_e32 v7, vcc, -1, v7, vcc
	v_cmp_gt_u32_e32 vcc, 2, v10
	s_or_b64 s[6:7], vcc, s[6:7]
	s_waitcnt vmcnt(0) lgkmcnt(0)
	v_not_b32_e32 v11, v11
	v_and_b32_e32 v11, v13, v11
	flat_store_dword v[8:9], v11
	v_add_co_u32_e32 v8, vcc, -4, v8
	v_addc_co_u32_e32 v9, vcc, -1, v9, vcc
	s_andn2_b64 exec, exec, s[6:7]
	s_cbranch_execnz .LBB3_304
; %bb.305:
	s_or_b64 exec, exec, s[6:7]
	v_add_co_u32_e32 v8, vcc, v16, v18
	v_addc_co_u32_e32 v9, vcc, v17, v19, vcc
	v_accvgpr_read_b32 v4, a32
	v_accvgpr_read_b32 v5, a33
	v_add_co_u32_e32 v4, vcc, v4, v8
	v_addc_co_u32_e32 v5, vcc, v5, v9, vcc
	v_add_co_u32_e32 v6, vcc, v0, v18
	v_addc_co_u32_e32 v7, vcc, v1, v19, vcc
	;; [unrolled: 2-line block ×3, first 2 shown]
	s_mov_b64 s[6:7], 0
	v_pk_mov_b32 v[10:11], v[4:5], v[4:5] op_sel:[0,1]
	v_mov_b32_e32 v13, v12
.LBB3_306:                              ; =>This Inner Loop Header: Depth=1
	flat_load_dword v14, v[6:7]
	flat_load_dword v15, v[8:9]
	v_add_co_u32_e32 v6, vcc, -4, v6
	v_addc_co_u32_e32 v7, vcc, -1, v7, vcc
	v_add_co_u32_e32 v8, vcc, -4, v8
	v_add_u32_e32 v13, -1, v13
	v_addc_co_u32_e32 v9, vcc, -1, v9, vcc
	v_cmp_gt_u32_e32 vcc, 2, v13
	s_or_b64 s[6:7], vcc, s[6:7]
	s_waitcnt vmcnt(0) lgkmcnt(0)
	v_not_b32_e32 v14, v14
	v_and_b32_e32 v14, v15, v14
	flat_store_dword v[10:11], v14
	v_add_co_u32_e32 v10, vcc, -4, v10
	v_addc_co_u32_e32 v11, vcc, -1, v11, vcc
	s_andn2_b64 exec, exec, s[6:7]
	s_cbranch_execnz .LBB3_306
; %bb.307:
	s_or_b64 exec, exec, s[6:7]
	s_mov_b64 s[6:7], 0
	v_mov_b32_e32 v6, v12
.LBB3_308:                              ; =>This Inner Loop Header: Depth=1
	v_add_co_u32_e32 v8, vcc, v2, v16
	v_addc_co_u32_e32 v9, vcc, v3, v17, vcc
	flat_load_dword v7, v[2:3]
	flat_load_dword v10, v[8:9]
	v_add_u32_e32 v6, -1, v6
	v_cmp_gt_u32_e32 vcc, 2, v6
	s_or_b64 s[6:7], vcc, s[6:7]
	s_waitcnt vmcnt(0) lgkmcnt(0)
	v_or_b32_e32 v7, v10, v7
	flat_store_dword v[2:3], v7
	v_add_co_u32_e32 v2, vcc, -4, v2
	v_addc_co_u32_e32 v3, vcc, -1, v3, vcc
	s_andn2_b64 exec, exec, s[6:7]
	s_cbranch_execnz .LBB3_308
; %bb.309:
	s_or_b64 exec, exec, s[6:7]
	v_add_co_u32_e32 v8, vcc, v44, v18
	v_addc_co_u32_e32 v9, vcc, v45, v19, vcc
	s_mov_b64 s[6:7], 0
.LBB3_310:                              ; =>This Inner Loop Header: Depth=1
	v_add_co_u32_e32 v2, vcc, v8, v16
	v_addc_co_u32_e32 v3, vcc, v9, v17, vcc
	flat_load_dword v6, v[8:9]
	flat_load_dword v7, v[2:3]
	v_add_co_u32_e32 v8, vcc, -4, v8
	v_add_u32_e32 v12, -1, v12
	v_addc_co_u32_e32 v9, vcc, -1, v9, vcc
	v_cmp_gt_u32_e32 vcc, 2, v12
	s_or_b64 s[6:7], vcc, s[6:7]
	s_waitcnt vmcnt(0) lgkmcnt(0)
	v_and_b32_e32 v2, v7, v6
	flat_store_dword v[4:5], v2
	v_add_co_u32_e32 v4, vcc, -4, v4
	v_addc_co_u32_e32 v5, vcc, -1, v5, vcc
	s_andn2_b64 exec, exec, s[6:7]
	s_cbranch_execnz .LBB3_310
.LBB3_311:
	s_or_b64 exec, exec, s[4:5]
	v_accvgpr_write_b32 a39, v1
	v_mov_b32_e32 v47, v0
	s_mov_b64 s[4:5], src_private_base
	v_accvgpr_read_b32 v0, a32
	v_lshrrev_b32_e64 v5, 6, s33
	s_mov_b64 s[8:9], s[34:35]
	v_accvgpr_read_b32 v1, a33
	v_mov_b32_e32 v2, v40
	v_mov_b32_e32 v3, v60
	;; [unrolled: 1-line block ×3, first 2 shown]
	v_add_u32_e32 v5, 0x78, v5
	v_mov_b32_e32 v6, s5
	v_mov_b32_e32 v7, v56
	;; [unrolled: 1-line block ×3, first 2 shown]
	s_getpc_b64 s[6:7]
	s_add_u32 s6, s6, _ZN3sop13minatoIsopRecEPKjS1_iPNS_3SopEP7VecsMemIjLi8192EE@rel32@lo+4
	s_addc_u32 s7, s7, _ZN3sop13minatoIsopRecEPKjS1_iPNS_3SopEP7VecsMemIjLi8192EE@rel32@hi+12
	s_swappc_b64 s[30:31], s[6:7]
	buffer_load_dword v46, off, s[0:3], s33 offset:92
	buffer_load_dword v45, off, s[0:3], s33 offset:108
	;; [unrolled: 1-line block ×6, first 2 shown]
	s_mov_b64 s[4:5], -1
	v_pk_mov_b32 v[54:55], 0, 0
	s_mov_b64 s[40:41], s[46:47]
	s_waitcnt vmcnt(4)
	v_add_u32_e32 v3, v45, v46
	s_waitcnt vmcnt(3)
	v_add_u32_e32 v2, v3, v2
	;; [unrolled: 2-line block ×3, first 2 shown]
	s_waitcnt vmcnt(0)
	v_add3_u32 v2, v2, v4, v5
	v_cmp_lt_i32_e32 vcc, 0, v3
	flat_store_dwordx2 v[58:59], v[2:3]
	s_and_saveexec_b64 s[26:27], vcc
	s_cbranch_execz .LBB3_462
; %bb.312:
	flat_load_dword v2, v[56:57]
	s_movk_i32 s4, 0x2001
	s_mov_b64 s[28:29], 0
	v_pk_mov_b32 v[54:55], 0, 0
	s_waitcnt vmcnt(0) lgkmcnt(0)
	v_add_u32_e32 v4, v2, v3
	v_cmp_gt_i32_e32 vcc, s4, v4
	s_and_saveexec_b64 s[4:5], vcc
	s_xor_b64 s[4:5], exec, s[4:5]
	s_cbranch_execz .LBB3_314
; %bb.313:
	v_ashrrev_i32_e32 v5, 31, v4
	flat_store_dword v[56:57], v4
	v_lshlrev_b64 v[4:5], 2, v[4:5]
	v_add_co_u32_e32 v6, vcc, v56, v4
	v_addc_co_u32_e32 v7, vcc, v57, v5, vcc
	v_mov_b32_e32 v5, 0
	v_mov_b32_e32 v4, v3
	v_lshlrev_b64 v[2:3], 2, v[4:5]
	v_sub_co_u32_e32 v2, vcc, v6, v2
	v_subb_co_u32_e32 v3, vcc, v7, v3, vcc
	v_add_co_u32_e32 v54, vcc, 4, v2
	s_mov_b64 s[28:29], exec
	v_addc_co_u32_e32 v55, vcc, 0, v3, vcc
.LBB3_314:
	s_or_saveexec_b64 s[40:41], s[4:5]
	s_mov_b64 s[4:5], s[46:47]
	s_xor_b64 exec, exec, s[40:41]
	s_cbranch_execz .LBB3_461
; %bb.315:
	s_load_dwordx2 s[6:7], s[34:35], 0x50
	v_mbcnt_lo_u32_b32 v2, -1, 0
	v_mbcnt_hi_u32_b32 v33, -1, v2
	v_readfirstlane_b32 s4, v33
	s_mov_b64 s[8:9], s[34:35]
	v_cmp_eq_u32_e64 s[4:5], s4, v33
	v_pk_mov_b32 v[8:9], 0, 0
	s_and_saveexec_b64 s[10:11], s[4:5]
	s_cbranch_execz .LBB3_321
; %bb.316:
	v_mov_b32_e32 v2, 0
	s_waitcnt lgkmcnt(0)
	global_load_dwordx2 v[6:7], v2, s[6:7] offset:24 glc
	s_waitcnt vmcnt(0)
	buffer_invl2
	buffer_wbinvl1_vol
	global_load_dwordx2 v[4:5], v2, s[6:7] offset:40
	global_load_dwordx2 v[8:9], v2, s[6:7]
	s_waitcnt vmcnt(1)
	v_and_b32_e32 v3, v4, v6
	v_and_b32_e32 v4, v5, v7
	v_mul_lo_u32 v4, v4, 24
	v_mul_hi_u32 v5, v3, 24
	v_mul_lo_u32 v3, v3, 24
	v_add_u32_e32 v5, v5, v4
	s_waitcnt vmcnt(0)
	v_add_co_u32_e32 v4, vcc, v8, v3
	v_addc_co_u32_e32 v5, vcc, v9, v5, vcc
	global_load_dwordx2 v[4:5], v[4:5], off glc
	s_waitcnt vmcnt(0)
	global_atomic_cmpswap_x2 v[8:9], v2, v[4:7], s[6:7] offset:24 glc
	s_waitcnt vmcnt(0)
	buffer_invl2
	buffer_wbinvl1_vol
	v_cmp_ne_u64_e32 vcc, v[8:9], v[6:7]
	s_and_saveexec_b64 s[12:13], vcc
	s_cbranch_execz .LBB3_320
; %bb.317:
	s_mov_b64 s[14:15], 0
.LBB3_318:                              ; =>This Inner Loop Header: Depth=1
	s_sleep 1
	global_load_dwordx2 v[4:5], v2, s[6:7] offset:40
	global_load_dwordx2 v[10:11], v2, s[6:7]
	v_pk_mov_b32 v[6:7], v[8:9], v[8:9] op_sel:[0,1]
	s_waitcnt vmcnt(1)
	v_and_b32_e32 v4, v4, v6
	v_and_b32_e32 v3, v5, v7
	s_waitcnt vmcnt(0)
	v_mad_u64_u32 v[4:5], s[16:17], v4, 24, v[10:11]
	v_mov_b32_e32 v8, v5
	v_mad_u64_u32 v[8:9], s[16:17], v3, 24, v[8:9]
	v_mov_b32_e32 v5, v8
	global_load_dwordx2 v[4:5], v[4:5], off glc
	s_waitcnt vmcnt(0)
	global_atomic_cmpswap_x2 v[8:9], v2, v[4:7], s[6:7] offset:24 glc
	s_waitcnt vmcnt(0)
	buffer_invl2
	buffer_wbinvl1_vol
	v_cmp_eq_u64_e32 vcc, v[8:9], v[6:7]
	s_or_b64 s[14:15], vcc, s[14:15]
	s_andn2_b64 exec, exec, s[14:15]
	s_cbranch_execnz .LBB3_318
; %bb.319:
	s_or_b64 exec, exec, s[14:15]
.LBB3_320:
	s_or_b64 exec, exec, s[12:13]
.LBB3_321:
	s_or_b64 exec, exec, s[10:11]
	v_mov_b32_e32 v7, 0
	s_waitcnt lgkmcnt(0)
	global_load_dwordx2 v[10:11], v7, s[6:7] offset:40
	global_load_dwordx4 v[2:5], v7, s[6:7]
	v_readfirstlane_b32 s10, v8
	v_readfirstlane_b32 s11, v9
	s_mov_b64 s[12:13], exec
	s_waitcnt vmcnt(0)
	v_readfirstlane_b32 s14, v10
	v_readfirstlane_b32 s15, v11
	s_and_b64 s[14:15], s[10:11], s[14:15]
	s_mul_i32 s16, s15, 24
	s_mul_hi_u32 s17, s14, 24
	s_mul_i32 s18, s14, 24
	s_add_i32 s16, s17, s16
	v_mov_b32_e32 v6, s16
	v_add_co_u32_e32 v10, vcc, s18, v2
	v_addc_co_u32_e32 v11, vcc, v3, v6, vcc
	s_and_saveexec_b64 s[16:17], s[4:5]
	s_cbranch_execz .LBB3_323
; %bb.322:
	v_pk_mov_b32 v[12:13], s[12:13], s[12:13] op_sel:[0,1]
	v_mov_b32_e32 v14, 2
	v_mov_b32_e32 v15, 1
	global_store_dwordx4 v[10:11], v[12:15], off offset:8
.LBB3_323:
	s_or_b64 exec, exec, s[16:17]
	s_lshl_b64 s[12:13], s[14:15], 12
	v_mov_b32_e32 v6, s13
	v_add_co_u32_e32 v4, vcc, s12, v4
	v_addc_co_u32_e32 v5, vcc, v5, v6, vcc
	s_mov_b32 s12, 0
	v_lshlrev_b32_e32 v32, 6, v33
	v_add_co_u32_e32 v12, vcc, v4, v32
	v_mov_b32_e32 v6, 33
	v_mov_b32_e32 v8, v7
	;; [unrolled: 1-line block ×3, first 2 shown]
	v_readfirstlane_b32 s16, v4
	v_readfirstlane_b32 s17, v5
	s_mov_b32 s13, s12
	v_addc_co_u32_e32 v13, vcc, 0, v5, vcc
	s_mov_b32 s14, s12
	s_mov_b32 s15, s12
	s_nop 0
	global_store_dwordx4 v32, v[6:9], s[16:17]
	v_pk_mov_b32 v[4:5], s[12:13], s[12:13] op_sel:[0,1]
	v_pk_mov_b32 v[6:7], s[14:15], s[14:15] op_sel:[0,1]
	global_store_dwordx4 v32, v[4:7], s[16:17] offset:16
	global_store_dwordx4 v32, v[4:7], s[16:17] offset:32
	;; [unrolled: 1-line block ×3, first 2 shown]
	s_and_saveexec_b64 s[12:13], s[4:5]
	s_cbranch_execz .LBB3_331
; %bb.324:
	v_mov_b32_e32 v8, 0
	global_load_dwordx2 v[16:17], v8, s[6:7] offset:32 glc
	global_load_dwordx2 v[4:5], v8, s[6:7] offset:40
	v_mov_b32_e32 v14, s10
	v_mov_b32_e32 v15, s11
	s_waitcnt vmcnt(0)
	v_and_b32_e32 v4, s10, v4
	v_and_b32_e32 v5, s11, v5
	v_mul_lo_u32 v5, v5, 24
	v_mul_hi_u32 v6, v4, 24
	v_mul_lo_u32 v4, v4, 24
	v_add_u32_e32 v5, v6, v5
	v_add_co_u32_e32 v6, vcc, v2, v4
	v_addc_co_u32_e32 v7, vcc, v3, v5, vcc
	global_store_dwordx2 v[6:7], v[16:17], off
	buffer_wbl2
	s_waitcnt vmcnt(0)
	global_atomic_cmpswap_x2 v[4:5], v8, v[14:17], s[6:7] offset:32 glc
	s_waitcnt vmcnt(0)
	v_cmp_ne_u64_e32 vcc, v[4:5], v[16:17]
	s_and_saveexec_b64 s[14:15], vcc
	s_cbranch_execz .LBB3_327
; %bb.325:
	s_mov_b64 s[16:17], 0
.LBB3_326:                              ; =>This Inner Loop Header: Depth=1
	s_sleep 1
	global_store_dwordx2 v[6:7], v[4:5], off
	v_mov_b32_e32 v2, s10
	v_mov_b32_e32 v3, s11
	buffer_wbl2
	s_waitcnt vmcnt(0)
	global_atomic_cmpswap_x2 v[2:3], v8, v[2:5], s[6:7] offset:32 glc
	s_waitcnt vmcnt(0)
	v_cmp_eq_u64_e32 vcc, v[2:3], v[4:5]
	s_or_b64 s[16:17], vcc, s[16:17]
	v_pk_mov_b32 v[4:5], v[2:3], v[2:3] op_sel:[0,1]
	s_andn2_b64 exec, exec, s[16:17]
	s_cbranch_execnz .LBB3_326
.LBB3_327:
	s_or_b64 exec, exec, s[14:15]
	v_mov_b32_e32 v5, 0
	global_load_dwordx2 v[2:3], v5, s[6:7] offset:16
	s_mov_b64 s[14:15], exec
	v_mbcnt_lo_u32_b32 v4, s14, 0
	v_mbcnt_hi_u32_b32 v4, s15, v4
	v_cmp_eq_u32_e32 vcc, 0, v4
	s_and_saveexec_b64 s[16:17], vcc
	s_cbranch_execz .LBB3_329
; %bb.328:
	s_bcnt1_i32_b64 s14, s[14:15]
	v_mov_b32_e32 v4, s14
	buffer_wbl2
	s_waitcnt vmcnt(0)
	global_atomic_add_x2 v[2:3], v[4:5], off offset:8
.LBB3_329:
	s_or_b64 exec, exec, s[16:17]
	s_waitcnt vmcnt(0)
	global_load_dwordx2 v[4:5], v[2:3], off offset:16
	s_waitcnt vmcnt(0)
	v_cmp_eq_u64_e32 vcc, 0, v[4:5]
	s_cbranch_vccnz .LBB3_331
; %bb.330:
	global_load_dword v2, v[2:3], off offset:24
	v_mov_b32_e32 v3, 0
	buffer_wbl2
	s_waitcnt vmcnt(0)
	global_store_dwordx2 v[4:5], v[2:3], off
	v_and_b32_e32 v2, 0xffffff, v2
	v_readfirstlane_b32 m0, v2
	s_sendmsg sendmsg(MSG_INTERRUPT)
.LBB3_331:
	s_or_b64 exec, exec, s[12:13]
	s_branch .LBB3_335
.LBB3_332:                              ;   in Loop: Header=BB3_335 Depth=1
	s_or_b64 exec, exec, s[12:13]
	v_readfirstlane_b32 s12, v2
	s_cmp_eq_u32 s12, 0
	s_cbranch_scc1 .LBB3_334
; %bb.333:                              ;   in Loop: Header=BB3_335 Depth=1
	s_sleep 1
	s_cbranch_execnz .LBB3_335
	s_branch .LBB3_337
.LBB3_334:
	s_branch .LBB3_337
.LBB3_335:                              ; =>This Inner Loop Header: Depth=1
	v_mov_b32_e32 v2, 1
	s_and_saveexec_b64 s[12:13], s[4:5]
	s_cbranch_execz .LBB3_332
; %bb.336:                              ;   in Loop: Header=BB3_335 Depth=1
	global_load_dword v2, v[10:11], off offset:20 glc
	s_waitcnt vmcnt(0)
	buffer_invl2
	buffer_wbinvl1_vol
	v_and_b32_e32 v2, 1, v2
	s_branch .LBB3_332
.LBB3_337:
	global_load_dwordx2 v[2:3], v[12:13], off
	s_and_saveexec_b64 s[12:13], s[4:5]
	s_cbranch_execz .LBB3_340
; %bb.338:
	v_mov_b32_e32 v10, 0
	global_load_dwordx2 v[8:9], v10, s[6:7] offset:40
	global_load_dwordx2 v[12:13], v10, s[6:7] offset:24 glc
	global_load_dwordx2 v[14:15], v10, s[6:7]
	v_mov_b32_e32 v5, s11
	s_mov_b64 s[4:5], 0
	s_waitcnt vmcnt(2)
	v_add_co_u32_e32 v7, vcc, 1, v8
	v_addc_co_u32_e32 v11, vcc, 0, v9, vcc
	v_add_co_u32_e32 v4, vcc, s10, v7
	v_addc_co_u32_e32 v5, vcc, v11, v5, vcc
	v_cmp_eq_u64_e32 vcc, 0, v[4:5]
	v_cndmask_b32_e32 v5, v5, v11, vcc
	v_cndmask_b32_e32 v4, v4, v7, vcc
	v_and_b32_e32 v7, v5, v9
	v_and_b32_e32 v8, v4, v8
	v_mul_lo_u32 v7, v7, 24
	v_mul_hi_u32 v9, v8, 24
	v_mul_lo_u32 v8, v8, 24
	v_add_u32_e32 v7, v9, v7
	s_waitcnt vmcnt(0)
	v_add_co_u32_e32 v8, vcc, v14, v8
	v_addc_co_u32_e32 v9, vcc, v15, v7, vcc
	v_mov_b32_e32 v6, v12
	global_store_dwordx2 v[8:9], v[12:13], off
	v_mov_b32_e32 v7, v13
	buffer_wbl2
	s_waitcnt vmcnt(0)
	global_atomic_cmpswap_x2 v[6:7], v10, v[4:7], s[6:7] offset:24 glc
	s_waitcnt vmcnt(0)
	v_cmp_ne_u64_e32 vcc, v[6:7], v[12:13]
	s_and_b64 exec, exec, vcc
	s_cbranch_execz .LBB3_340
.LBB3_339:                              ; =>This Inner Loop Header: Depth=1
	s_sleep 1
	global_store_dwordx2 v[8:9], v[6:7], off
	buffer_wbl2
	s_waitcnt vmcnt(0)
	global_atomic_cmpswap_x2 v[12:13], v10, v[4:7], s[6:7] offset:24 glc
	s_waitcnt vmcnt(0)
	v_cmp_eq_u64_e32 vcc, v[12:13], v[6:7]
	s_or_b64 s[4:5], vcc, s[4:5]
	v_pk_mov_b32 v[6:7], v[12:13], v[12:13] op_sel:[0,1]
	s_andn2_b64 exec, exec, s[4:5]
	s_cbranch_execnz .LBB3_339
.LBB3_340:
	s_or_b64 exec, exec, s[12:13]
	s_getpc_b64 s[10:11]
	s_add_u32 s10, s10, .str.28@rel32@lo+4
	s_addc_u32 s11, s11, .str.28@rel32@hi+12
	s_cmp_lg_u64 s[10:11], 0
	s_cbranch_scc0 .LBB3_432
; %bb.341:
	s_waitcnt vmcnt(0)
	v_and_b32_e32 v8, -3, v2
	v_mov_b32_e32 v9, v3
	s_mov_b64 s[12:13], 35
	v_mov_b32_e32 v29, 0
	v_mov_b32_e32 v6, 2
	;; [unrolled: 1-line block ×3, first 2 shown]
	s_branch .LBB3_343
.LBB3_342:                              ;   in Loop: Header=BB3_343 Depth=1
	s_or_b64 exec, exec, s[18:19]
	s_sub_u32 s12, s12, s14
	s_subb_u32 s13, s13, s15
	s_add_u32 s10, s10, s14
	s_addc_u32 s11, s11, s15
	s_cmp_lg_u64 s[12:13], 0
	s_cbranch_scc0 .LBB3_431
.LBB3_343:                              ; =>This Loop Header: Depth=1
                                        ;     Child Loop BB3_346 Depth 2
                                        ;     Child Loop BB3_354 Depth 2
	;; [unrolled: 1-line block ×11, first 2 shown]
	v_cmp_lt_u64_e64 s[4:5], s[12:13], 56
	s_and_b64 s[4:5], s[4:5], exec
	v_cmp_gt_u64_e64 s[4:5], s[12:13], 7
	s_cselect_b32 s15, s13, 0
	s_cselect_b32 s14, s12, 56
	s_and_b64 vcc, exec, s[4:5]
	s_cbranch_vccnz .LBB3_348
; %bb.344:                              ;   in Loop: Header=BB3_343 Depth=1
	s_mov_b64 s[4:5], 0
	s_cmp_eq_u64 s[12:13], 0
	s_waitcnt vmcnt(0)
	v_pk_mov_b32 v[10:11], 0, 0
	s_cbranch_scc1 .LBB3_347
; %bb.345:                              ;   in Loop: Header=BB3_343 Depth=1
	s_lshl_b64 s[16:17], s[14:15], 3
	s_mov_b64 s[18:19], 0
	v_pk_mov_b32 v[10:11], 0, 0
	s_mov_b64 s[20:21], s[10:11]
.LBB3_346:                              ;   Parent Loop BB3_343 Depth=1
                                        ; =>  This Inner Loop Header: Depth=2
	global_load_ubyte v4, v29, s[20:21]
	s_waitcnt vmcnt(0)
	v_and_b32_e32 v28, 0xffff, v4
	v_lshlrev_b64 v[4:5], s18, v[28:29]
	s_add_u32 s18, s18, 8
	s_addc_u32 s19, s19, 0
	s_add_u32 s20, s20, 1
	s_addc_u32 s21, s21, 0
	v_or_b32_e32 v10, v4, v10
	s_cmp_lg_u32 s16, s18
	v_or_b32_e32 v11, v5, v11
	s_cbranch_scc1 .LBB3_346
.LBB3_347:                              ;   in Loop: Header=BB3_343 Depth=1
	s_mov_b32 s20, 0
	s_branch .LBB3_349
.LBB3_348:                              ;   in Loop: Header=BB3_343 Depth=1
	s_mov_b64 s[4:5], -1
                                        ; implicit-def: $sgpr20
.LBB3_349:                              ;   in Loop: Header=BB3_343 Depth=1
	s_andn2_b64 vcc, exec, s[4:5]
	s_mov_b64 s[4:5], s[10:11]
	s_cbranch_vccnz .LBB3_351
; %bb.350:                              ;   in Loop: Header=BB3_343 Depth=1
	global_load_dwordx2 v[10:11], v29, s[10:11]
	s_add_i32 s20, s14, -8
	s_add_u32 s4, s10, 8
	s_addc_u32 s5, s11, 0
.LBB3_351:                              ;   in Loop: Header=BB3_343 Depth=1
	s_cmp_gt_u32 s20, 7
	s_cbranch_scc1 .LBB3_355
; %bb.352:                              ;   in Loop: Header=BB3_343 Depth=1
	s_cmp_eq_u32 s20, 0
	s_cbranch_scc1 .LBB3_356
; %bb.353:                              ;   in Loop: Header=BB3_343 Depth=1
	s_mov_b64 s[16:17], 0
	v_pk_mov_b32 v[12:13], 0, 0
	s_mov_b64 s[18:19], 0
.LBB3_354:                              ;   Parent Loop BB3_343 Depth=1
                                        ; =>  This Inner Loop Header: Depth=2
	s_add_u32 s22, s4, s18
	s_addc_u32 s23, s5, s19
	global_load_ubyte v4, v29, s[22:23]
	s_add_u32 s18, s18, 1
	s_addc_u32 s19, s19, 0
	s_waitcnt vmcnt(0)
	v_and_b32_e32 v28, 0xffff, v4
	v_lshlrev_b64 v[4:5], s16, v[28:29]
	s_add_u32 s16, s16, 8
	s_addc_u32 s17, s17, 0
	v_or_b32_e32 v12, v4, v12
	s_cmp_lg_u32 s20, s18
	v_or_b32_e32 v13, v5, v13
	s_cbranch_scc1 .LBB3_354
	s_branch .LBB3_357
.LBB3_355:                              ;   in Loop: Header=BB3_343 Depth=1
	s_mov_b64 s[16:17], -1
                                        ; implicit-def: $vgpr12_vgpr13
                                        ; implicit-def: $sgpr21
	s_branch .LBB3_358
.LBB3_356:                              ;   in Loop: Header=BB3_343 Depth=1
	v_pk_mov_b32 v[12:13], 0, 0
.LBB3_357:                              ;   in Loop: Header=BB3_343 Depth=1
	s_mov_b64 s[16:17], 0
	s_mov_b32 s21, 0
.LBB3_358:                              ;   in Loop: Header=BB3_343 Depth=1
	s_andn2_b64 vcc, exec, s[16:17]
	s_cbranch_vccnz .LBB3_360
; %bb.359:                              ;   in Loop: Header=BB3_343 Depth=1
	global_load_dwordx2 v[12:13], v29, s[4:5]
	s_add_i32 s21, s20, -8
	s_add_u32 s4, s4, 8
	s_addc_u32 s5, s5, 0
.LBB3_360:                              ;   in Loop: Header=BB3_343 Depth=1
	s_cmp_gt_u32 s21, 7
	s_cbranch_scc1 .LBB3_364
; %bb.361:                              ;   in Loop: Header=BB3_343 Depth=1
	s_cmp_eq_u32 s21, 0
	s_cbranch_scc1 .LBB3_365
; %bb.362:                              ;   in Loop: Header=BB3_343 Depth=1
	s_mov_b64 s[16:17], 0
	v_pk_mov_b32 v[14:15], 0, 0
	s_mov_b64 s[18:19], 0
.LBB3_363:                              ;   Parent Loop BB3_343 Depth=1
                                        ; =>  This Inner Loop Header: Depth=2
	s_add_u32 s22, s4, s18
	s_addc_u32 s23, s5, s19
	global_load_ubyte v4, v29, s[22:23]
	s_add_u32 s18, s18, 1
	s_addc_u32 s19, s19, 0
	s_waitcnt vmcnt(0)
	v_and_b32_e32 v28, 0xffff, v4
	v_lshlrev_b64 v[4:5], s16, v[28:29]
	s_add_u32 s16, s16, 8
	s_addc_u32 s17, s17, 0
	v_or_b32_e32 v14, v4, v14
	s_cmp_lg_u32 s21, s18
	v_or_b32_e32 v15, v5, v15
	s_cbranch_scc1 .LBB3_363
	s_branch .LBB3_366
.LBB3_364:                              ;   in Loop: Header=BB3_343 Depth=1
	s_mov_b64 s[16:17], -1
                                        ; implicit-def: $sgpr20
	s_branch .LBB3_367
.LBB3_365:                              ;   in Loop: Header=BB3_343 Depth=1
	v_pk_mov_b32 v[14:15], 0, 0
.LBB3_366:                              ;   in Loop: Header=BB3_343 Depth=1
	s_mov_b64 s[16:17], 0
	s_mov_b32 s20, 0
.LBB3_367:                              ;   in Loop: Header=BB3_343 Depth=1
	s_andn2_b64 vcc, exec, s[16:17]
	s_cbranch_vccnz .LBB3_369
; %bb.368:                              ;   in Loop: Header=BB3_343 Depth=1
	global_load_dwordx2 v[14:15], v29, s[4:5]
	s_add_i32 s20, s21, -8
	s_add_u32 s4, s4, 8
	s_addc_u32 s5, s5, 0
.LBB3_369:                              ;   in Loop: Header=BB3_343 Depth=1
	s_cmp_gt_u32 s20, 7
	s_cbranch_scc1 .LBB3_373
; %bb.370:                              ;   in Loop: Header=BB3_343 Depth=1
	s_cmp_eq_u32 s20, 0
	s_cbranch_scc1 .LBB3_374
; %bb.371:                              ;   in Loop: Header=BB3_343 Depth=1
	s_mov_b64 s[16:17], 0
	v_pk_mov_b32 v[16:17], 0, 0
	s_mov_b64 s[18:19], 0
.LBB3_372:                              ;   Parent Loop BB3_343 Depth=1
                                        ; =>  This Inner Loop Header: Depth=2
	s_add_u32 s22, s4, s18
	s_addc_u32 s23, s5, s19
	global_load_ubyte v4, v29, s[22:23]
	s_add_u32 s18, s18, 1
	s_addc_u32 s19, s19, 0
	s_waitcnt vmcnt(0)
	v_and_b32_e32 v28, 0xffff, v4
	v_lshlrev_b64 v[4:5], s16, v[28:29]
	s_add_u32 s16, s16, 8
	s_addc_u32 s17, s17, 0
	v_or_b32_e32 v16, v4, v16
	s_cmp_lg_u32 s20, s18
	v_or_b32_e32 v17, v5, v17
	s_cbranch_scc1 .LBB3_372
	s_branch .LBB3_375
.LBB3_373:                              ;   in Loop: Header=BB3_343 Depth=1
	s_mov_b64 s[16:17], -1
                                        ; implicit-def: $vgpr16_vgpr17
                                        ; implicit-def: $sgpr21
	s_branch .LBB3_376
.LBB3_374:                              ;   in Loop: Header=BB3_343 Depth=1
	v_pk_mov_b32 v[16:17], 0, 0
.LBB3_375:                              ;   in Loop: Header=BB3_343 Depth=1
	s_mov_b64 s[16:17], 0
	s_mov_b32 s21, 0
.LBB3_376:                              ;   in Loop: Header=BB3_343 Depth=1
	s_andn2_b64 vcc, exec, s[16:17]
	s_cbranch_vccnz .LBB3_378
; %bb.377:                              ;   in Loop: Header=BB3_343 Depth=1
	global_load_dwordx2 v[16:17], v29, s[4:5]
	s_add_i32 s21, s20, -8
	s_add_u32 s4, s4, 8
	s_addc_u32 s5, s5, 0
.LBB3_378:                              ;   in Loop: Header=BB3_343 Depth=1
	s_cmp_gt_u32 s21, 7
	s_cbranch_scc1 .LBB3_382
; %bb.379:                              ;   in Loop: Header=BB3_343 Depth=1
	s_cmp_eq_u32 s21, 0
	s_cbranch_scc1 .LBB3_383
; %bb.380:                              ;   in Loop: Header=BB3_343 Depth=1
	s_mov_b64 s[16:17], 0
	v_pk_mov_b32 v[18:19], 0, 0
	s_mov_b64 s[18:19], 0
.LBB3_381:                              ;   Parent Loop BB3_343 Depth=1
                                        ; =>  This Inner Loop Header: Depth=2
	s_add_u32 s22, s4, s18
	s_addc_u32 s23, s5, s19
	global_load_ubyte v4, v29, s[22:23]
	s_add_u32 s18, s18, 1
	s_addc_u32 s19, s19, 0
	s_waitcnt vmcnt(0)
	v_and_b32_e32 v28, 0xffff, v4
	v_lshlrev_b64 v[4:5], s16, v[28:29]
	s_add_u32 s16, s16, 8
	s_addc_u32 s17, s17, 0
	v_or_b32_e32 v18, v4, v18
	s_cmp_lg_u32 s21, s18
	v_or_b32_e32 v19, v5, v19
	s_cbranch_scc1 .LBB3_381
	s_branch .LBB3_384
.LBB3_382:                              ;   in Loop: Header=BB3_343 Depth=1
	s_mov_b64 s[16:17], -1
                                        ; implicit-def: $sgpr20
	s_branch .LBB3_385
.LBB3_383:                              ;   in Loop: Header=BB3_343 Depth=1
	v_pk_mov_b32 v[18:19], 0, 0
.LBB3_384:                              ;   in Loop: Header=BB3_343 Depth=1
	s_mov_b64 s[16:17], 0
	s_mov_b32 s20, 0
.LBB3_385:                              ;   in Loop: Header=BB3_343 Depth=1
	s_andn2_b64 vcc, exec, s[16:17]
	s_cbranch_vccnz .LBB3_387
; %bb.386:                              ;   in Loop: Header=BB3_343 Depth=1
	global_load_dwordx2 v[18:19], v29, s[4:5]
	s_add_i32 s20, s21, -8
	s_add_u32 s4, s4, 8
	s_addc_u32 s5, s5, 0
.LBB3_387:                              ;   in Loop: Header=BB3_343 Depth=1
	s_cmp_gt_u32 s20, 7
	s_cbranch_scc1 .LBB3_391
; %bb.388:                              ;   in Loop: Header=BB3_343 Depth=1
	s_cmp_eq_u32 s20, 0
	s_cbranch_scc1 .LBB3_392
; %bb.389:                              ;   in Loop: Header=BB3_343 Depth=1
	s_mov_b64 s[16:17], 0
	v_pk_mov_b32 v[20:21], 0, 0
	s_mov_b64 s[18:19], 0
.LBB3_390:                              ;   Parent Loop BB3_343 Depth=1
                                        ; =>  This Inner Loop Header: Depth=2
	s_add_u32 s22, s4, s18
	s_addc_u32 s23, s5, s19
	global_load_ubyte v4, v29, s[22:23]
	s_add_u32 s18, s18, 1
	s_addc_u32 s19, s19, 0
	s_waitcnt vmcnt(0)
	v_and_b32_e32 v28, 0xffff, v4
	v_lshlrev_b64 v[4:5], s16, v[28:29]
	s_add_u32 s16, s16, 8
	s_addc_u32 s17, s17, 0
	v_or_b32_e32 v20, v4, v20
	s_cmp_lg_u32 s20, s18
	v_or_b32_e32 v21, v5, v21
	s_cbranch_scc1 .LBB3_390
	s_branch .LBB3_393
.LBB3_391:                              ;   in Loop: Header=BB3_343 Depth=1
	s_mov_b64 s[16:17], -1
                                        ; implicit-def: $vgpr20_vgpr21
                                        ; implicit-def: $sgpr21
	s_branch .LBB3_394
.LBB3_392:                              ;   in Loop: Header=BB3_343 Depth=1
	v_pk_mov_b32 v[20:21], 0, 0
.LBB3_393:                              ;   in Loop: Header=BB3_343 Depth=1
	s_mov_b64 s[16:17], 0
	s_mov_b32 s21, 0
.LBB3_394:                              ;   in Loop: Header=BB3_343 Depth=1
	s_andn2_b64 vcc, exec, s[16:17]
	s_cbranch_vccnz .LBB3_396
; %bb.395:                              ;   in Loop: Header=BB3_343 Depth=1
	global_load_dwordx2 v[20:21], v29, s[4:5]
	s_add_i32 s21, s20, -8
	s_add_u32 s4, s4, 8
	s_addc_u32 s5, s5, 0
.LBB3_396:                              ;   in Loop: Header=BB3_343 Depth=1
	s_cmp_gt_u32 s21, 7
	s_cbranch_scc1 .LBB3_400
; %bb.397:                              ;   in Loop: Header=BB3_343 Depth=1
	s_cmp_eq_u32 s21, 0
	s_cbranch_scc1 .LBB3_401
; %bb.398:                              ;   in Loop: Header=BB3_343 Depth=1
	s_mov_b64 s[16:17], 0
	v_pk_mov_b32 v[22:23], 0, 0
	s_mov_b64 s[18:19], s[4:5]
.LBB3_399:                              ;   Parent Loop BB3_343 Depth=1
                                        ; =>  This Inner Loop Header: Depth=2
	global_load_ubyte v4, v29, s[18:19]
	s_add_i32 s21, s21, -1
	s_waitcnt vmcnt(0)
	v_and_b32_e32 v28, 0xffff, v4
	v_lshlrev_b64 v[4:5], s16, v[28:29]
	s_add_u32 s16, s16, 8
	s_addc_u32 s17, s17, 0
	s_add_u32 s18, s18, 1
	s_addc_u32 s19, s19, 0
	v_or_b32_e32 v22, v4, v22
	s_cmp_lg_u32 s21, 0
	v_or_b32_e32 v23, v5, v23
	s_cbranch_scc1 .LBB3_399
	s_branch .LBB3_402
.LBB3_400:                              ;   in Loop: Header=BB3_343 Depth=1
	s_mov_b64 s[16:17], -1
	s_branch .LBB3_403
.LBB3_401:                              ;   in Loop: Header=BB3_343 Depth=1
	v_pk_mov_b32 v[22:23], 0, 0
.LBB3_402:                              ;   in Loop: Header=BB3_343 Depth=1
	s_mov_b64 s[16:17], 0
.LBB3_403:                              ;   in Loop: Header=BB3_343 Depth=1
	s_andn2_b64 vcc, exec, s[16:17]
	s_cbranch_vccnz .LBB3_405
; %bb.404:                              ;   in Loop: Header=BB3_343 Depth=1
	global_load_dwordx2 v[22:23], v29, s[4:5]
.LBB3_405:                              ;   in Loop: Header=BB3_343 Depth=1
	v_readfirstlane_b32 s4, v33
	v_cmp_eq_u32_e64 s[4:5], s4, v33
	v_pk_mov_b32 v[4:5], 0, 0
	s_and_saveexec_b64 s[16:17], s[4:5]
	s_cbranch_execz .LBB3_411
; %bb.406:                              ;   in Loop: Header=BB3_343 Depth=1
	global_load_dwordx2 v[26:27], v29, s[6:7] offset:24 glc
	s_waitcnt vmcnt(0)
	buffer_invl2
	buffer_wbinvl1_vol
	global_load_dwordx2 v[4:5], v29, s[6:7] offset:40
	global_load_dwordx2 v[24:25], v29, s[6:7]
	s_waitcnt vmcnt(1)
	v_and_b32_e32 v4, v4, v26
	v_and_b32_e32 v5, v5, v27
	v_mul_lo_u32 v5, v5, 24
	v_mul_hi_u32 v28, v4, 24
	v_mul_lo_u32 v4, v4, 24
	v_add_u32_e32 v5, v28, v5
	s_waitcnt vmcnt(0)
	v_add_co_u32_e32 v4, vcc, v24, v4
	v_addc_co_u32_e32 v5, vcc, v25, v5, vcc
	global_load_dwordx2 v[24:25], v[4:5], off glc
	s_waitcnt vmcnt(0)
	global_atomic_cmpswap_x2 v[4:5], v29, v[24:27], s[6:7] offset:24 glc
	s_waitcnt vmcnt(0)
	buffer_invl2
	buffer_wbinvl1_vol
	v_cmp_ne_u64_e32 vcc, v[4:5], v[26:27]
	s_and_saveexec_b64 s[18:19], vcc
	s_cbranch_execz .LBB3_410
; %bb.407:                              ;   in Loop: Header=BB3_343 Depth=1
	s_mov_b64 s[20:21], 0
.LBB3_408:                              ;   Parent Loop BB3_343 Depth=1
                                        ; =>  This Inner Loop Header: Depth=2
	s_sleep 1
	global_load_dwordx2 v[24:25], v29, s[6:7] offset:40
	global_load_dwordx2 v[30:31], v29, s[6:7]
	v_pk_mov_b32 v[26:27], v[4:5], v[4:5] op_sel:[0,1]
	s_waitcnt vmcnt(1)
	v_and_b32_e32 v4, v24, v26
	s_waitcnt vmcnt(0)
	v_mad_u64_u32 v[4:5], s[22:23], v4, 24, v[30:31]
	v_and_b32_e32 v25, v25, v27
	v_mov_b32_e32 v24, v5
	v_mad_u64_u32 v[24:25], s[22:23], v25, 24, v[24:25]
	v_mov_b32_e32 v5, v24
	global_load_dwordx2 v[24:25], v[4:5], off glc
	s_waitcnt vmcnt(0)
	global_atomic_cmpswap_x2 v[4:5], v29, v[24:27], s[6:7] offset:24 glc
	s_waitcnt vmcnt(0)
	buffer_invl2
	buffer_wbinvl1_vol
	v_cmp_eq_u64_e32 vcc, v[4:5], v[26:27]
	s_or_b64 s[20:21], vcc, s[20:21]
	s_andn2_b64 exec, exec, s[20:21]
	s_cbranch_execnz .LBB3_408
; %bb.409:                              ;   in Loop: Header=BB3_343 Depth=1
	s_or_b64 exec, exec, s[20:21]
.LBB3_410:                              ;   in Loop: Header=BB3_343 Depth=1
	s_or_b64 exec, exec, s[18:19]
.LBB3_411:                              ;   in Loop: Header=BB3_343 Depth=1
	s_or_b64 exec, exec, s[16:17]
	global_load_dwordx2 v[30:31], v29, s[6:7] offset:40
	global_load_dwordx4 v[24:27], v29, s[6:7]
	v_readfirstlane_b32 s16, v4
	v_readfirstlane_b32 s17, v5
	s_mov_b64 s[18:19], exec
	s_waitcnt vmcnt(1)
	v_readfirstlane_b32 s20, v30
	v_readfirstlane_b32 s21, v31
	s_and_b64 s[20:21], s[16:17], s[20:21]
	s_mul_i32 s22, s21, 24
	s_mul_hi_u32 s23, s20, 24
	s_mul_i32 s24, s20, 24
	s_add_i32 s22, s23, s22
	v_mov_b32_e32 v4, s22
	s_waitcnt vmcnt(0)
	v_add_co_u32_e32 v30, vcc, s24, v24
	v_addc_co_u32_e32 v31, vcc, v25, v4, vcc
	s_and_saveexec_b64 s[22:23], s[4:5]
	s_cbranch_execz .LBB3_413
; %bb.412:                              ;   in Loop: Header=BB3_343 Depth=1
	v_pk_mov_b32 v[4:5], s[18:19], s[18:19] op_sel:[0,1]
	global_store_dwordx4 v[30:31], v[4:7], off offset:8
.LBB3_413:                              ;   in Loop: Header=BB3_343 Depth=1
	s_or_b64 exec, exec, s[22:23]
	s_lshl_b64 s[18:19], s[20:21], 12
	v_mov_b32_e32 v5, s19
	v_add_co_u32_e32 v4, vcc, s18, v26
	v_addc_co_u32_e32 v5, vcc, v27, v5, vcc
	v_or_b32_e32 v26, 2, v8
	v_cmp_gt_u64_e64 vcc, s[12:13], 56
	s_lshl_b32 s18, s14, 2
	v_cndmask_b32_e32 v8, v26, v8, vcc
	s_add_i32 s18, s18, 28
	s_and_b32 s18, s18, 0x1e0
	v_and_b32_e32 v8, 0xffffff1f, v8
	v_or_b32_e32 v8, s18, v8
	v_readfirstlane_b32 s18, v4
	v_readfirstlane_b32 s19, v5
	s_nop 4
	global_store_dwordx4 v32, v[8:11], s[18:19]
	global_store_dwordx4 v32, v[12:15], s[18:19] offset:16
	global_store_dwordx4 v32, v[16:19], s[18:19] offset:32
	global_store_dwordx4 v32, v[20:23], s[18:19] offset:48
	s_and_saveexec_b64 s[18:19], s[4:5]
	s_cbranch_execz .LBB3_421
; %bb.414:                              ;   in Loop: Header=BB3_343 Depth=1
	global_load_dwordx2 v[16:17], v29, s[6:7] offset:32 glc
	global_load_dwordx2 v[8:9], v29, s[6:7] offset:40
	v_mov_b32_e32 v14, s16
	v_mov_b32_e32 v15, s17
	s_waitcnt vmcnt(0)
	v_readfirstlane_b32 s20, v8
	v_readfirstlane_b32 s21, v9
	s_and_b64 s[20:21], s[20:21], s[16:17]
	s_mul_i32 s21, s21, 24
	s_mul_hi_u32 s22, s20, 24
	s_mul_i32 s20, s20, 24
	s_add_i32 s21, s22, s21
	v_mov_b32_e32 v8, s21
	v_add_co_u32_e32 v12, vcc, s20, v24
	v_addc_co_u32_e32 v13, vcc, v25, v8, vcc
	global_store_dwordx2 v[12:13], v[16:17], off
	buffer_wbl2
	s_waitcnt vmcnt(0)
	global_atomic_cmpswap_x2 v[10:11], v29, v[14:17], s[6:7] offset:32 glc
	s_waitcnt vmcnt(0)
	v_cmp_ne_u64_e32 vcc, v[10:11], v[16:17]
	s_and_saveexec_b64 s[20:21], vcc
	s_cbranch_execz .LBB3_417
; %bb.415:                              ;   in Loop: Header=BB3_343 Depth=1
	s_mov_b64 s[22:23], 0
.LBB3_416:                              ;   Parent Loop BB3_343 Depth=1
                                        ; =>  This Inner Loop Header: Depth=2
	s_sleep 1
	global_store_dwordx2 v[12:13], v[10:11], off
	v_mov_b32_e32 v8, s16
	v_mov_b32_e32 v9, s17
	buffer_wbl2
	s_waitcnt vmcnt(0)
	global_atomic_cmpswap_x2 v[8:9], v29, v[8:11], s[6:7] offset:32 glc
	s_waitcnt vmcnt(0)
	v_cmp_eq_u64_e32 vcc, v[8:9], v[10:11]
	s_or_b64 s[22:23], vcc, s[22:23]
	v_pk_mov_b32 v[10:11], v[8:9], v[8:9] op_sel:[0,1]
	s_andn2_b64 exec, exec, s[22:23]
	s_cbranch_execnz .LBB3_416
.LBB3_417:                              ;   in Loop: Header=BB3_343 Depth=1
	s_or_b64 exec, exec, s[20:21]
	global_load_dwordx2 v[8:9], v29, s[6:7] offset:16
	s_mov_b64 s[22:23], exec
	v_mbcnt_lo_u32_b32 v10, s22, 0
	v_mbcnt_hi_u32_b32 v10, s23, v10
	v_cmp_eq_u32_e32 vcc, 0, v10
	s_and_saveexec_b64 s[20:21], vcc
	s_cbranch_execz .LBB3_419
; %bb.418:                              ;   in Loop: Header=BB3_343 Depth=1
	s_bcnt1_i32_b64 s22, s[22:23]
	v_mov_b32_e32 v28, s22
	buffer_wbl2
	s_waitcnt vmcnt(0)
	global_atomic_add_x2 v[8:9], v[28:29], off offset:8
.LBB3_419:                              ;   in Loop: Header=BB3_343 Depth=1
	s_or_b64 exec, exec, s[20:21]
	s_waitcnt vmcnt(0)
	global_load_dwordx2 v[10:11], v[8:9], off offset:16
	s_waitcnt vmcnt(0)
	v_cmp_eq_u64_e32 vcc, 0, v[10:11]
	s_cbranch_vccnz .LBB3_421
; %bb.420:                              ;   in Loop: Header=BB3_343 Depth=1
	global_load_dword v28, v[8:9], off offset:24
	s_waitcnt vmcnt(0)
	v_and_b32_e32 v8, 0xffffff, v28
	v_readfirstlane_b32 m0, v8
	buffer_wbl2
	global_store_dwordx2 v[10:11], v[28:29], off
	s_sendmsg sendmsg(MSG_INTERRUPT)
.LBB3_421:                              ;   in Loop: Header=BB3_343 Depth=1
	s_or_b64 exec, exec, s[18:19]
	v_add_co_u32_e32 v4, vcc, v4, v32
	v_addc_co_u32_e32 v5, vcc, 0, v5, vcc
	s_branch .LBB3_425
.LBB3_422:                              ;   in Loop: Header=BB3_425 Depth=2
	s_or_b64 exec, exec, s[18:19]
	v_readfirstlane_b32 s18, v8
	s_cmp_eq_u32 s18, 0
	s_cbranch_scc1 .LBB3_424
; %bb.423:                              ;   in Loop: Header=BB3_425 Depth=2
	s_sleep 1
	s_cbranch_execnz .LBB3_425
	s_branch .LBB3_427
.LBB3_424:                              ;   in Loop: Header=BB3_343 Depth=1
	s_branch .LBB3_427
.LBB3_425:                              ;   Parent Loop BB3_343 Depth=1
                                        ; =>  This Inner Loop Header: Depth=2
	v_mov_b32_e32 v8, 1
	s_and_saveexec_b64 s[18:19], s[4:5]
	s_cbranch_execz .LBB3_422
; %bb.426:                              ;   in Loop: Header=BB3_425 Depth=2
	global_load_dword v8, v[30:31], off offset:20 glc
	s_waitcnt vmcnt(0)
	buffer_invl2
	buffer_wbinvl1_vol
	v_and_b32_e32 v8, 1, v8
	s_branch .LBB3_422
.LBB3_427:                              ;   in Loop: Header=BB3_343 Depth=1
	global_load_dwordx4 v[8:11], v[4:5], off
	s_and_saveexec_b64 s[18:19], s[4:5]
	s_cbranch_execz .LBB3_342
; %bb.428:                              ;   in Loop: Header=BB3_343 Depth=1
	global_load_dwordx2 v[4:5], v29, s[6:7] offset:40
	global_load_dwordx2 v[14:15], v29, s[6:7] offset:24 glc
	global_load_dwordx2 v[16:17], v29, s[6:7]
	s_waitcnt vmcnt(3)
	v_mov_b32_e32 v11, s17
	s_waitcnt vmcnt(2)
	v_add_co_u32_e32 v13, vcc, 1, v4
	v_addc_co_u32_e32 v18, vcc, 0, v5, vcc
	v_add_co_u32_e32 v10, vcc, s16, v13
	v_addc_co_u32_e32 v11, vcc, v18, v11, vcc
	v_cmp_eq_u64_e32 vcc, 0, v[10:11]
	v_cndmask_b32_e32 v11, v11, v18, vcc
	v_cndmask_b32_e32 v10, v10, v13, vcc
	v_and_b32_e32 v5, v11, v5
	v_and_b32_e32 v4, v10, v4
	v_mul_lo_u32 v5, v5, 24
	v_mul_hi_u32 v13, v4, 24
	v_mul_lo_u32 v4, v4, 24
	v_add_u32_e32 v5, v13, v5
	s_waitcnt vmcnt(0)
	v_add_co_u32_e32 v4, vcc, v16, v4
	v_addc_co_u32_e32 v5, vcc, v17, v5, vcc
	v_mov_b32_e32 v12, v14
	global_store_dwordx2 v[4:5], v[14:15], off
	v_mov_b32_e32 v13, v15
	buffer_wbl2
	s_waitcnt vmcnt(0)
	global_atomic_cmpswap_x2 v[12:13], v29, v[10:13], s[6:7] offset:24 glc
	s_waitcnt vmcnt(0)
	v_cmp_ne_u64_e32 vcc, v[12:13], v[14:15]
	s_and_b64 exec, exec, vcc
	s_cbranch_execz .LBB3_342
; %bb.429:                              ;   in Loop: Header=BB3_343 Depth=1
	s_mov_b64 s[4:5], 0
.LBB3_430:                              ;   Parent Loop BB3_343 Depth=1
                                        ; =>  This Inner Loop Header: Depth=2
	s_sleep 1
	global_store_dwordx2 v[4:5], v[12:13], off
	buffer_wbl2
	s_waitcnt vmcnt(0)
	global_atomic_cmpswap_x2 v[14:15], v29, v[10:13], s[6:7] offset:24 glc
	s_waitcnt vmcnt(0)
	v_cmp_eq_u64_e32 vcc, v[14:15], v[12:13]
	s_or_b64 s[4:5], vcc, s[4:5]
	v_pk_mov_b32 v[12:13], v[14:15], v[14:15] op_sel:[0,1]
	s_andn2_b64 exec, exec, s[4:5]
	s_cbranch_execnz .LBB3_430
	s_branch .LBB3_342
.LBB3_431:
	s_mov_b64 s[4:5], 0
	s_branch .LBB3_433
.LBB3_432:
	s_mov_b64 s[4:5], -1
.LBB3_433:
	v_accvgpr_write_b32 a0, v1
	v_accvgpr_write_b32 a1, v0
	s_and_b64 vcc, exec, s[4:5]
	s_cbranch_vccz .LBB3_460
; %bb.434:
	v_readfirstlane_b32 s4, v33
	v_cmp_eq_u32_e64 s[4:5], s4, v33
	v_pk_mov_b32 v[0:1], 0, 0
	s_and_saveexec_b64 s[10:11], s[4:5]
	s_cbranch_execz .LBB3_440
; %bb.435:
	v_mov_b32_e32 v4, 0
	global_load_dwordx2 v[8:9], v4, s[6:7] offset:24 glc
	s_waitcnt vmcnt(0)
	buffer_invl2
	buffer_wbinvl1_vol
	global_load_dwordx2 v[0:1], v4, s[6:7] offset:40
	global_load_dwordx2 v[6:7], v4, s[6:7]
	s_waitcnt vmcnt(1)
	v_and_b32_e32 v0, v0, v8
	v_and_b32_e32 v1, v1, v9
	v_mul_lo_u32 v1, v1, 24
	v_mul_hi_u32 v5, v0, 24
	v_mul_lo_u32 v0, v0, 24
	v_add_u32_e32 v1, v5, v1
	s_waitcnt vmcnt(0)
	v_add_co_u32_e32 v0, vcc, v6, v0
	v_addc_co_u32_e32 v1, vcc, v7, v1, vcc
	global_load_dwordx2 v[6:7], v[0:1], off glc
	s_waitcnt vmcnt(0)
	global_atomic_cmpswap_x2 v[0:1], v4, v[6:9], s[6:7] offset:24 glc
	s_waitcnt vmcnt(0)
	buffer_invl2
	buffer_wbinvl1_vol
	v_cmp_ne_u64_e32 vcc, v[0:1], v[8:9]
	s_and_saveexec_b64 s[12:13], vcc
	s_cbranch_execz .LBB3_439
; %bb.436:
	s_mov_b64 s[14:15], 0
.LBB3_437:                              ; =>This Inner Loop Header: Depth=1
	s_sleep 1
	global_load_dwordx2 v[6:7], v4, s[6:7] offset:40
	global_load_dwordx2 v[10:11], v4, s[6:7]
	v_pk_mov_b32 v[8:9], v[0:1], v[0:1] op_sel:[0,1]
	s_waitcnt vmcnt(1)
	v_and_b32_e32 v0, v6, v8
	s_waitcnt vmcnt(0)
	v_mad_u64_u32 v[0:1], s[16:17], v0, 24, v[10:11]
	v_and_b32_e32 v5, v7, v9
	v_mov_b32_e32 v6, v1
	v_mad_u64_u32 v[6:7], s[16:17], v5, 24, v[6:7]
	v_mov_b32_e32 v1, v6
	global_load_dwordx2 v[6:7], v[0:1], off glc
	s_waitcnt vmcnt(0)
	global_atomic_cmpswap_x2 v[0:1], v4, v[6:9], s[6:7] offset:24 glc
	s_waitcnt vmcnt(0)
	buffer_invl2
	buffer_wbinvl1_vol
	v_cmp_eq_u64_e32 vcc, v[0:1], v[8:9]
	s_or_b64 s[14:15], vcc, s[14:15]
	s_andn2_b64 exec, exec, s[14:15]
	s_cbranch_execnz .LBB3_437
; %bb.438:
	s_or_b64 exec, exec, s[14:15]
.LBB3_439:
	s_or_b64 exec, exec, s[12:13]
.LBB3_440:
	s_or_b64 exec, exec, s[10:11]
	v_mov_b32_e32 v4, 0
	global_load_dwordx2 v[10:11], v4, s[6:7] offset:40
	global_load_dwordx4 v[6:9], v4, s[6:7]
	v_readfirstlane_b32 s10, v0
	v_readfirstlane_b32 s11, v1
	s_mov_b64 s[12:13], exec
	s_waitcnt vmcnt(1)
	v_readfirstlane_b32 s14, v10
	v_readfirstlane_b32 s15, v11
	s_and_b64 s[14:15], s[10:11], s[14:15]
	s_mul_i32 s16, s15, 24
	s_mul_hi_u32 s17, s14, 24
	s_mul_i32 s18, s14, 24
	s_add_i32 s16, s17, s16
	v_mov_b32_e32 v0, s16
	s_waitcnt vmcnt(0)
	v_add_co_u32_e32 v10, vcc, s18, v6
	v_addc_co_u32_e32 v11, vcc, v7, v0, vcc
	s_and_saveexec_b64 s[16:17], s[4:5]
	s_cbranch_execz .LBB3_442
; %bb.441:
	v_pk_mov_b32 v[12:13], s[12:13], s[12:13] op_sel:[0,1]
	v_mov_b32_e32 v14, 2
	v_mov_b32_e32 v15, 1
	global_store_dwordx4 v[10:11], v[12:15], off offset:8
.LBB3_442:
	s_or_b64 exec, exec, s[16:17]
	s_lshl_b64 s[12:13], s[14:15], 12
	v_mov_b32_e32 v1, s13
	v_add_co_u32_e32 v0, vcc, s12, v8
	s_movk_i32 s12, 0xff1d
	v_addc_co_u32_e32 v1, vcc, v9, v1, vcc
	v_and_or_b32 v2, v2, s12, 34
	s_mov_b32 s12, 0
	v_mov_b32_e32 v5, v4
	v_readfirstlane_b32 s16, v0
	v_readfirstlane_b32 s17, v1
	s_mov_b32 s13, s12
	s_mov_b32 s14, s12
	;; [unrolled: 1-line block ×3, first 2 shown]
	s_nop 1
	global_store_dwordx4 v32, v[2:5], s[16:17]
	v_pk_mov_b32 v[0:1], s[12:13], s[12:13] op_sel:[0,1]
	v_pk_mov_b32 v[2:3], s[14:15], s[14:15] op_sel:[0,1]
	global_store_dwordx4 v32, v[0:3], s[16:17] offset:16
	global_store_dwordx4 v32, v[0:3], s[16:17] offset:32
	;; [unrolled: 1-line block ×3, first 2 shown]
	s_and_saveexec_b64 s[12:13], s[4:5]
	s_cbranch_execz .LBB3_450
; %bb.443:
	v_mov_b32_e32 v8, 0
	global_load_dwordx2 v[14:15], v8, s[6:7] offset:32 glc
	global_load_dwordx2 v[0:1], v8, s[6:7] offset:40
	v_mov_b32_e32 v12, s10
	v_mov_b32_e32 v13, s11
	s_waitcnt vmcnt(0)
	v_readfirstlane_b32 s14, v0
	v_readfirstlane_b32 s15, v1
	s_and_b64 s[14:15], s[14:15], s[10:11]
	s_mul_i32 s15, s15, 24
	s_mul_hi_u32 s16, s14, 24
	s_mul_i32 s14, s14, 24
	s_add_i32 s15, s16, s15
	v_mov_b32_e32 v0, s15
	v_add_co_u32_e32 v4, vcc, s14, v6
	v_addc_co_u32_e32 v5, vcc, v7, v0, vcc
	global_store_dwordx2 v[4:5], v[14:15], off
	buffer_wbl2
	s_waitcnt vmcnt(0)
	global_atomic_cmpswap_x2 v[2:3], v8, v[12:15], s[6:7] offset:32 glc
	s_waitcnt vmcnt(0)
	v_cmp_ne_u64_e32 vcc, v[2:3], v[14:15]
	s_and_saveexec_b64 s[14:15], vcc
	s_cbranch_execz .LBB3_446
; %bb.444:
	s_mov_b64 s[16:17], 0
.LBB3_445:                              ; =>This Inner Loop Header: Depth=1
	s_sleep 1
	global_store_dwordx2 v[4:5], v[2:3], off
	v_mov_b32_e32 v0, s10
	v_mov_b32_e32 v1, s11
	buffer_wbl2
	s_waitcnt vmcnt(0)
	global_atomic_cmpswap_x2 v[0:1], v8, v[0:3], s[6:7] offset:32 glc
	s_waitcnt vmcnt(0)
	v_cmp_eq_u64_e32 vcc, v[0:1], v[2:3]
	s_or_b64 s[16:17], vcc, s[16:17]
	v_pk_mov_b32 v[2:3], v[0:1], v[0:1] op_sel:[0,1]
	s_andn2_b64 exec, exec, s[16:17]
	s_cbranch_execnz .LBB3_445
.LBB3_446:
	s_or_b64 exec, exec, s[14:15]
	v_mov_b32_e32 v3, 0
	global_load_dwordx2 v[0:1], v3, s[6:7] offset:16
	s_mov_b64 s[14:15], exec
	v_mbcnt_lo_u32_b32 v2, s14, 0
	v_mbcnt_hi_u32_b32 v2, s15, v2
	v_cmp_eq_u32_e32 vcc, 0, v2
	s_and_saveexec_b64 s[16:17], vcc
	s_cbranch_execz .LBB3_448
; %bb.447:
	s_bcnt1_i32_b64 s14, s[14:15]
	v_mov_b32_e32 v2, s14
	buffer_wbl2
	s_waitcnt vmcnt(0)
	global_atomic_add_x2 v[0:1], v[2:3], off offset:8
.LBB3_448:
	s_or_b64 exec, exec, s[16:17]
	s_waitcnt vmcnt(0)
	global_load_dwordx2 v[2:3], v[0:1], off offset:16
	s_waitcnt vmcnt(0)
	v_cmp_eq_u64_e32 vcc, 0, v[2:3]
	s_cbranch_vccnz .LBB3_450
; %bb.449:
	global_load_dword v0, v[0:1], off offset:24
	v_mov_b32_e32 v1, 0
	buffer_wbl2
	s_waitcnt vmcnt(0)
	global_store_dwordx2 v[2:3], v[0:1], off
	v_and_b32_e32 v0, 0xffffff, v0
	v_readfirstlane_b32 m0, v0
	s_sendmsg sendmsg(MSG_INTERRUPT)
.LBB3_450:
	s_or_b64 exec, exec, s[12:13]
	s_branch .LBB3_454
.LBB3_451:                              ;   in Loop: Header=BB3_454 Depth=1
	s_or_b64 exec, exec, s[12:13]
	v_readfirstlane_b32 s12, v0
	s_cmp_eq_u32 s12, 0
	s_cbranch_scc1 .LBB3_453
; %bb.452:                              ;   in Loop: Header=BB3_454 Depth=1
	s_sleep 1
	s_cbranch_execnz .LBB3_454
	s_branch .LBB3_456
.LBB3_453:
	s_branch .LBB3_456
.LBB3_454:                              ; =>This Inner Loop Header: Depth=1
	v_mov_b32_e32 v0, 1
	s_and_saveexec_b64 s[12:13], s[4:5]
	s_cbranch_execz .LBB3_451
; %bb.455:                              ;   in Loop: Header=BB3_454 Depth=1
	global_load_dword v0, v[10:11], off offset:20 glc
	s_waitcnt vmcnt(0)
	buffer_invl2
	buffer_wbinvl1_vol
	v_and_b32_e32 v0, 1, v0
	s_branch .LBB3_451
.LBB3_456:
	s_and_saveexec_b64 s[12:13], s[4:5]
	s_cbranch_execz .LBB3_459
; %bb.457:
	v_mov_b32_e32 v6, 0
	global_load_dwordx2 v[4:5], v6, s[6:7] offset:40
	global_load_dwordx2 v[8:9], v6, s[6:7] offset:24 glc
	global_load_dwordx2 v[10:11], v6, s[6:7]
	v_mov_b32_e32 v1, s11
	s_mov_b64 s[4:5], 0
	s_waitcnt vmcnt(2)
	v_add_co_u32_e32 v3, vcc, 1, v4
	v_addc_co_u32_e32 v7, vcc, 0, v5, vcc
	v_add_co_u32_e32 v0, vcc, s10, v3
	v_addc_co_u32_e32 v1, vcc, v7, v1, vcc
	v_cmp_eq_u64_e32 vcc, 0, v[0:1]
	v_cndmask_b32_e32 v1, v1, v7, vcc
	v_cndmask_b32_e32 v0, v0, v3, vcc
	v_and_b32_e32 v3, v1, v5
	v_and_b32_e32 v4, v0, v4
	v_mul_lo_u32 v3, v3, 24
	v_mul_hi_u32 v5, v4, 24
	v_mul_lo_u32 v4, v4, 24
	v_add_u32_e32 v3, v5, v3
	s_waitcnt vmcnt(0)
	v_add_co_u32_e32 v4, vcc, v10, v4
	v_addc_co_u32_e32 v5, vcc, v11, v3, vcc
	v_mov_b32_e32 v2, v8
	global_store_dwordx2 v[4:5], v[8:9], off
	v_mov_b32_e32 v3, v9
	buffer_wbl2
	s_waitcnt vmcnt(0)
	global_atomic_cmpswap_x2 v[2:3], v6, v[0:3], s[6:7] offset:24 glc
	s_waitcnt vmcnt(0)
	v_cmp_ne_u64_e32 vcc, v[2:3], v[8:9]
	s_and_b64 exec, exec, vcc
	s_cbranch_execz .LBB3_459
.LBB3_458:                              ; =>This Inner Loop Header: Depth=1
	s_sleep 1
	global_store_dwordx2 v[4:5], v[2:3], off
	buffer_wbl2
	s_waitcnt vmcnt(0)
	global_atomic_cmpswap_x2 v[8:9], v6, v[0:3], s[6:7] offset:24 glc
	s_waitcnt vmcnt(0)
	v_cmp_eq_u64_e32 vcc, v[8:9], v[2:3]
	s_or_b64 s[4:5], vcc, s[4:5]
	v_pk_mov_b32 v[2:3], v[8:9], v[8:9] op_sel:[0,1]
	s_andn2_b64 exec, exec, s[4:5]
	s_cbranch_execnz .LBB3_458
.LBB3_459:
	s_or_b64 exec, exec, s[12:13]
.LBB3_460:
	s_getpc_b64 s[4:5]
	s_add_u32 s4, s4, .str.29@rel32@lo+4
	s_addc_u32 s5, s5, .str.29@rel32@hi+12
	s_getpc_b64 s[6:7]
	s_add_u32 s6, s6, .str.19@rel32@lo+4
	s_addc_u32 s7, s7, .str.19@rel32@hi+12
	s_getpc_b64 s[10:11]
	s_add_u32 s10, s10, __PRETTY_FUNCTION__._ZN7VecsMemIjLi8192EE5fetchEi@rel32@lo+4
	s_addc_u32 s11, s11, __PRETTY_FUNCTION__._ZN7VecsMemIjLi8192EE5fetchEi@rel32@hi+12
	v_mov_b32_e32 v0, s4
	v_mov_b32_e32 v1, s5
	s_waitcnt vmcnt(0)
	v_mov_b32_e32 v2, s6
	v_mov_b32_e32 v3, s7
	;; [unrolled: 1-line block ×5, first 2 shown]
	s_getpc_b64 s[12:13]
	s_add_u32 s12, s12, __assert_fail@rel32@lo+4
	s_addc_u32 s13, s13, __assert_fail@rel32@hi+12
	s_swappc_b64 s[30:31], s[12:13]
	s_or_b64 s[4:5], s[46:47], exec
	v_accvgpr_read_b32 v0, a1
	v_accvgpr_read_b32 v1, a0
.LBB3_461:
	s_or_b64 exec, exec, s[40:41]
	s_andn2_b64 s[6:7], s[46:47], exec
	s_and_b64 s[4:5], s[4:5], exec
	s_or_b64 s[40:41], s[6:7], s[4:5]
	s_orn2_b64 s[4:5], s[28:29], exec
.LBB3_462:
	s_or_b64 exec, exec, s[26:27]
	s_mov_b64 s[6:7], 0
	s_and_saveexec_b64 s[26:27], s[4:5]
	s_mov_b64 s[8:9], s[34:35]
	s_cbranch_execz .LBB3_495
; %bb.463:
	s_mov_b64 s[42:43], 0
	v_cmp_ne_u64_e32 vcc, 0, v[54:55]
	s_mov_b64 s[44:45], s[40:41]
	flat_store_dwordx2 v[58:59], v[54:55] offset:8
	s_and_saveexec_b64 s[4:5], vcc
	s_xor_b64 s[28:29], exec, s[4:5]
	s_cbranch_execz .LBB3_492
; %bb.464:
	v_mov_b32_e32 v2, 0
	v_lshlrev_b32_e32 v6, 1, v41
	v_cmp_lt_i32_e32 vcc, 0, v46
	s_mov_b64 s[4:5], exec
	v_accvgpr_read_b32 v14, a34
	s_and_b64 s[6:7], s[4:5], vcc
	v_accvgpr_read_b32 v15, a35
	s_mov_b64 exec, s[6:7]
	s_cbranch_execnz .LBB3_467
; %bb.465:
	s_or_b64 exec, exec, s[4:5]
	v_cmp_lt_i32_e32 vcc, 0, v45
	s_and_saveexec_b64 s[4:5], vcc
	s_cbranch_execnz .LBB3_470
.LBB3_466:
	s_or_b64 exec, exec, s[4:5]
	v_cmp_lt_i32_e32 vcc, 0, v44
	s_and_saveexec_b64 s[4:5], vcc
	s_cbranch_execnz .LBB3_473
	s_branch .LBB3_476
.LBB3_467:
	buffer_load_dword v2, off, s[0:3], s33 offset:96
	buffer_load_dword v3, off, s[0:3], s33 offset:100
	v_lshlrev_b32_e64 v7, v6, 1
	s_mov_b64 s[6:7], 0
	v_pk_mov_b32 v[4:5], v[54:55], v[54:55] op_sel:[0,1]
	v_mov_b32_e32 v8, v46
.LBB3_468:                              ; =>This Inner Loop Header: Depth=1
	s_waitcnt vmcnt(0)
	flat_load_dword v9, v[2:3]
	v_add_co_u32_e32 v2, vcc, 4, v2
	v_add_u32_e32 v8, -1, v8
	v_addc_co_u32_e32 v3, vcc, 0, v3, vcc
	v_cmp_eq_u32_e32 vcc, 0, v8
	s_or_b64 s[6:7], vcc, s[6:7]
	s_waitcnt vmcnt(0) lgkmcnt(0)
	v_or_b32_e32 v9, v9, v7
	flat_store_dword v[4:5], v9
	v_add_co_u32_e32 v4, vcc, 4, v4
	v_addc_co_u32_e32 v5, vcc, 0, v5, vcc
	s_andn2_b64 exec, exec, s[6:7]
	s_cbranch_execnz .LBB3_468
; %bb.469:
	s_or_b64 exec, exec, s[6:7]
	v_mov_b32_e32 v2, v46
	s_or_b64 exec, exec, s[4:5]
	v_cmp_lt_i32_e32 vcc, 0, v45
	s_and_saveexec_b64 s[4:5], vcc
	s_cbranch_execz .LBB3_466
.LBB3_470:
	buffer_load_dword v4, off, s[0:3], s33 offset:112
	buffer_load_dword v5, off, s[0:3], s33 offset:116
	v_mov_b32_e32 v3, 0
	v_lshlrev_b32_e64 v8, v6, 2
	v_lshlrev_b64 v[6:7], 2, v[2:3]
	v_add_co_u32_e32 v6, vcc, v54, v6
	v_addc_co_u32_e32 v7, vcc, v55, v7, vcc
	v_add_u32_e32 v2, v45, v2
	s_mov_b64 s[6:7], 0
.LBB3_471:                              ; =>This Inner Loop Header: Depth=1
	s_waitcnt vmcnt(0)
	flat_load_dword v3, v[4:5]
	v_add_co_u32_e32 v4, vcc, 4, v4
	v_add_u32_e32 v45, -1, v45
	v_addc_co_u32_e32 v5, vcc, 0, v5, vcc
	v_cmp_eq_u32_e32 vcc, 0, v45
	s_or_b64 s[6:7], vcc, s[6:7]
	s_waitcnt vmcnt(0) lgkmcnt(0)
	v_or_b32_e32 v3, v3, v8
	flat_store_dword v[6:7], v3
	v_add_co_u32_e32 v6, vcc, 4, v6
	v_addc_co_u32_e32 v7, vcc, 0, v7, vcc
	s_andn2_b64 exec, exec, s[6:7]
	s_cbranch_execnz .LBB3_471
; %bb.472:
	s_or_b64 exec, exec, s[6:7]
	s_or_b64 exec, exec, s[4:5]
	v_cmp_lt_i32_e32 vcc, 0, v44
	s_and_saveexec_b64 s[4:5], vcc
	s_cbranch_execz .LBB3_476
.LBB3_473:
	buffer_load_dword v4, off, s[0:3], s33 offset:128
	buffer_load_dword v5, off, s[0:3], s33 offset:132
	v_mov_b32_e32 v3, 0
	v_lshlrev_b64 v[6:7], 2, v[2:3]
	v_add_co_u32_e32 v6, vcc, v54, v6
	v_addc_co_u32_e32 v7, vcc, v55, v7, vcc
	v_add_u32_e32 v2, v44, v2
	s_mov_b64 s[6:7], 0
.LBB3_474:                              ; =>This Inner Loop Header: Depth=1
	s_waitcnt vmcnt(0)
	flat_load_dword v3, v[4:5]
	v_add_co_u32_e32 v4, vcc, 4, v4
	v_add_u32_e32 v44, -1, v44
	v_addc_co_u32_e32 v5, vcc, 0, v5, vcc
	v_cmp_eq_u32_e32 vcc, 0, v44
	s_or_b64 s[6:7], vcc, s[6:7]
	s_waitcnt vmcnt(0) lgkmcnt(0)
	flat_store_dword v[6:7], v3
	v_add_co_u32_e32 v6, vcc, 4, v6
	v_addc_co_u32_e32 v7, vcc, 0, v7, vcc
	s_andn2_b64 exec, exec, s[6:7]
	s_cbranch_execnz .LBB3_474
; %bb.475:
	s_or_b64 exec, exec, s[6:7]
.LBB3_476:
	s_or_b64 exec, exec, s[4:5]
	flat_load_dword v3, v[58:59] offset:4
	s_mov_b64 s[6:7], s[40:41]
	s_waitcnt vmcnt(0) lgkmcnt(0)
	v_cmp_ne_u32_e32 vcc, v2, v3
	s_and_saveexec_b64 s[4:5], vcc
	s_xor_b64 s[42:43], exec, s[4:5]
	s_cbranch_execz .LBB3_478
; %bb.477:
	s_getpc_b64 s[4:5]
	s_add_u32 s4, s4, .str.23@rel32@lo+4
	s_addc_u32 s5, s5, .str.23@rel32@hi+12
	s_getpc_b64 s[6:7]
	s_add_u32 s6, s6, .str.16@rel32@lo+4
	s_addc_u32 s7, s7, .str.16@rel32@hi+12
	s_getpc_b64 s[10:11]
	s_add_u32 s10, s10, __PRETTY_FUNCTION__._ZN3sop13minatoIsopRecEPKjS1_iPNS_3SopEP7VecsMemIjLi8192EE@rel32@lo+4
	s_addc_u32 s11, s11, __PRETTY_FUNCTION__._ZN3sop13minatoIsopRecEPKjS1_iPNS_3SopEP7VecsMemIjLi8192EE@rel32@hi+12
	s_mov_b64 s[8:9], s[34:35]
	v_mov_b32_e32 v0, s4
	v_mov_b32_e32 v1, s5
	;; [unrolled: 1-line block ×7, first 2 shown]
	s_getpc_b64 s[12:13]
	s_add_u32 s12, s12, __assert_fail@rel32@lo+4
	s_addc_u32 s13, s13, __assert_fail@rel32@hi+12
	s_swappc_b64 s[30:31], s[12:13]
	s_mov_b64 s[8:9], s[34:35]
	s_or_b64 s[6:7], s[40:41], exec
                                        ; implicit-def: $agpr36_agpr37
                                        ; implicit-def: $vgpr43
                                        ; implicit-def: $agpr37
                                        ; implicit-def: $agpr38
                                        ; implicit-def: $vgpr47
                                        ; implicit-def: $agpr39
                                        ; implicit-def: $vgpr0
                                        ; implicit-def: $vgpr1
                                        ; implicit-def: $vgpr14_vgpr15
.LBB3_478:
	s_or_saveexec_b64 s[10:11], s[42:43]
	s_mov_b64 s[4:5], 0
	s_xor_b64 exec, exec, s[10:11]
	s_cbranch_execz .LBB3_491
; %bb.479:
	s_and_saveexec_b64 s[4:5], s[36:37]
	s_cbranch_execz .LBB3_484
; %bb.480:
	v_accvgpr_read_b32 v2, a36
	v_add_u32_e32 v10, 1, v2
	v_add_u32_e32 v2, -1, v2
	v_mov_b32_e32 v3, 0
	v_lshlrev_b64 v[2:3], 2, v[2:3]
	v_accvgpr_read_b32 v4, a32
	v_accvgpr_read_b32 v5, a33
	v_add_co_u32_e32 v4, vcc, v4, v2
	v_addc_co_u32_e32 v5, vcc, v5, v3, vcc
	v_add_co_u32_e32 v0, vcc, v0, v2
	v_addc_co_u32_e32 v1, vcc, v1, v3, vcc
	v_accvgpr_read_b32 v6, a37
	v_add_co_u32_e32 v6, vcc, v6, v2
	v_accvgpr_read_b32 v7, a38
	v_addc_co_u32_e32 v7, vcc, v7, v3, vcc
	s_mov_b64 s[12:13], 0
	v_pk_mov_b32 v[8:9], v[0:1], v[0:1] op_sel:[0,1]
	v_mov_b32_e32 v11, v10
.LBB3_481:                              ; =>This Inner Loop Header: Depth=1
	flat_load_dword v12, v[6:7]
	flat_load_dword v13, v[8:9]
	v_add_co_u32_e32 v8, vcc, -4, v8
	v_addc_co_u32_e32 v9, vcc, -1, v9, vcc
	v_add_co_u32_e32 v6, vcc, -4, v6
	v_add_u32_e32 v11, -1, v11
	v_addc_co_u32_e32 v7, vcc, -1, v7, vcc
	v_cmp_gt_u32_e32 vcc, 2, v11
	s_or_b64 s[12:13], vcc, s[12:13]
	s_waitcnt vmcnt(0) lgkmcnt(0)
	v_or_b32_e32 v12, v13, v12
	flat_store_dword v[4:5], v12
	v_add_co_u32_e32 v4, vcc, -4, v4
	v_addc_co_u32_e32 v5, vcc, -1, v5, vcc
	s_andn2_b64 exec, exec, s[12:13]
	s_cbranch_execnz .LBB3_481
; %bb.482:
	s_or_b64 exec, exec, s[12:13]
	v_add_co_u32_e32 v4, vcc, v14, v2
	v_addc_co_u32_e32 v5, vcc, v15, v3, vcc
	v_accvgpr_read_b32 v6, a32
	v_accvgpr_read_b32 v7, a33
	v_add_co_u32_e32 v4, vcc, v6, v4
	v_addc_co_u32_e32 v5, vcc, v7, v5, vcc
	v_add_co_u32_e32 v2, vcc, v47, v2
	v_accvgpr_read_b32 v6, a39
	v_addc_co_u32_e32 v3, vcc, v6, v3, vcc
	s_mov_b64 s[12:13], 0
.LBB3_483:                              ; =>This Inner Loop Header: Depth=1
	flat_load_dword v6, v[2:3]
	flat_load_dword v7, v[0:1]
	v_add_co_u32_e32 v0, vcc, -4, v0
	v_addc_co_u32_e32 v1, vcc, -1, v1, vcc
	v_add_co_u32_e32 v2, vcc, -4, v2
	v_add_u32_e32 v10, -1, v10
	v_addc_co_u32_e32 v3, vcc, -1, v3, vcc
	v_cmp_gt_u32_e32 vcc, 2, v10
	s_or_b64 s[12:13], vcc, s[12:13]
	s_waitcnt vmcnt(0) lgkmcnt(0)
	v_or_b32_e32 v6, v7, v6
	flat_store_dword v[4:5], v6
	v_add_co_u32_e32 v4, vcc, -4, v4
	v_addc_co_u32_e32 v5, vcc, -1, v5, vcc
	s_andn2_b64 exec, exec, s[12:13]
	s_cbranch_execnz .LBB3_483
.LBB3_484:
	s_or_b64 exec, exec, s[4:5]
	v_lshlrev_b32_e64 v6, v43, 2
	v_ashrrev_i32_e32 v0, 31, v6
	v_add_u32_e32 v1, v6, v0
	v_xor_b32_e32 v1, v1, v0
	v_cvt_f32_u32_e32 v2, v1
	v_sub_u32_e32 v5, 0, v1
	v_ashrrev_i32_e32 v3, 31, v42
	v_add_u32_e32 v4, v42, v3
	v_rcp_iflag_f32_e32 v2, v2
	v_xor_b32_e32 v4, v4, v3
	v_xor_b32_e32 v0, v3, v0
	s_mov_b32 s20, 1
	v_mul_f32_e32 v2, 0x4f7ffffe, v2
	v_cvt_u32_f32_e32 v2, v2
	v_mul_lo_u32 v5, v5, v2
	v_mul_hi_u32 v5, v2, v5
	v_add_u32_e32 v2, v2, v5
	v_mul_hi_u32 v2, v4, v2
	v_mul_lo_u32 v5, v2, v1
	v_sub_u32_e32 v4, v4, v5
	v_add_u32_e32 v7, 1, v2
	v_sub_u32_e32 v5, v4, v1
	v_cmp_ge_u32_e32 vcc, v4, v1
	v_cndmask_b32_e32 v4, v4, v5, vcc
	v_cndmask_b32_e32 v2, v2, v7, vcc
	v_add_u32_e32 v5, 1, v2
	v_cmp_ge_u32_e32 vcc, v4, v1
	v_cndmask_b32_e32 v1, v2, v5, vcc
	v_xor_b32_e32 v1, v1, v0
	v_sub_u32_e32 v7, v1, v0
	v_cmp_lt_i32_e32 vcc, 1, v7
	s_and_saveexec_b64 s[12:13], vcc
	s_cbranch_execz .LBB3_490
; %bb.485:
	v_cmp_lt_i32_e32 vcc, 0, v6
	s_mov_b64 s[14:15], 0
	v_mov_b32_e32 v1, 0
	v_mov_b32_e32 v0, v6
	s_branch .LBB3_487
.LBB3_486:                              ;   in Loop: Header=BB3_487 Depth=1
	s_or_b64 exec, exec, s[16:17]
	s_add_i32 s20, s20, 1
	v_cmp_eq_u32_e64 s[4:5], s20, v7
	s_or_b64 s[14:15], s[4:5], s[14:15]
	v_add_u32_e32 v0, v0, v6
	s_andn2_b64 exec, exec, s[14:15]
	s_cbranch_execz .LBB3_490
.LBB3_487:                              ; =>This Loop Header: Depth=1
                                        ;     Child Loop BB3_489 Depth 2
	s_and_saveexec_b64 s[16:17], vcc
	s_cbranch_execz .LBB3_486
; %bb.488:                              ;   in Loop: Header=BB3_487 Depth=1
	v_accvgpr_read_b32 v4, a32
	v_lshlrev_b64 v[2:3], 2, v[0:1]
	s_mov_b64 s[18:19], 0
	v_accvgpr_read_b32 v5, a33
	v_mov_b32_e32 v8, v6
.LBB3_489:                              ;   Parent Loop BB3_487 Depth=1
                                        ; =>  This Inner Loop Header: Depth=2
	flat_load_dword v9, v[4:5]
	v_add_co_u32_e64 v10, s[4:5], v4, v2
	v_addc_co_u32_e64 v11, s[4:5], v5, v3, s[4:5]
	v_add_co_u32_e64 v4, s[4:5], 4, v4
	v_add_u32_e32 v8, -1, v8
	v_addc_co_u32_e64 v5, s[4:5], 0, v5, s[4:5]
	v_cmp_eq_u32_e64 s[4:5], 0, v8
	s_or_b64 s[18:19], s[4:5], s[18:19]
	s_waitcnt vmcnt(0) lgkmcnt(0)
	flat_store_dword v[10:11], v9
	s_andn2_b64 exec, exec, s[18:19]
	s_cbranch_execnz .LBB3_489
	s_branch .LBB3_486
.LBB3_490:
	s_or_b64 exec, exec, s[12:13]
	s_mov_b64 s[4:5], exec
.LBB3_491:
	s_or_b64 exec, exec, s[10:11]
	s_andn2_b64 s[10:11], s[40:41], exec
	s_and_b64 s[6:7], s[6:7], exec
	s_or_b64 s[44:45], s[10:11], s[6:7]
	s_and_b64 s[42:43], s[4:5], exec
.LBB3_492:
	s_andn2_saveexec_b64 s[28:29], s[28:29]
	s_cbranch_execz .LBB3_494
; %bb.493:
	s_getpc_b64 s[4:5]
	s_add_u32 s4, s4, .str.20@rel32@lo+4
	s_addc_u32 s5, s5, .str.20@rel32@hi+12
	s_getpc_b64 s[6:7]
	s_add_u32 s6, s6, .str.16@rel32@lo+4
	s_addc_u32 s7, s7, .str.16@rel32@hi+12
	s_getpc_b64 s[10:11]
	s_add_u32 s10, s10, __PRETTY_FUNCTION__._ZN3sop13minatoIsopRecEPKjS1_iPNS_3SopEP7VecsMemIjLi8192EE@rel32@lo+4
	s_addc_u32 s11, s11, __PRETTY_FUNCTION__._ZN3sop13minatoIsopRecEPKjS1_iPNS_3SopEP7VecsMemIjLi8192EE@rel32@hi+12
	s_mov_b64 s[8:9], s[34:35]
	v_mov_b32_e32 v0, s4
	v_mov_b32_e32 v1, s5
	;; [unrolled: 1-line block ×7, first 2 shown]
	s_getpc_b64 s[12:13]
	s_add_u32 s12, s12, __assert_fail@rel32@lo+4
	s_addc_u32 s13, s13, __assert_fail@rel32@hi+12
	s_swappc_b64 s[30:31], s[12:13]
	s_mov_b64 s[8:9], s[34:35]
	s_or_b64 s[44:45], s[44:45], exec
.LBB3_494:
	s_or_b64 exec, exec, s[28:29]
	s_andn2_b64 s[4:5], s[40:41], exec
	s_and_b64 s[6:7], s[44:45], exec
	s_or_b64 s[40:41], s[4:5], s[6:7]
	s_and_b64 s[6:7], s[42:43], exec
.LBB3_495:
	s_or_b64 exec, exec, s[26:27]
	s_andn2_b64 s[4:5], s[46:47], exec
	s_and_b64 s[10:11], s[40:41], exec
	s_or_b64 s[96:97], s[4:5], s[10:11]
	s_and_b64 s[94:95], s[6:7], exec
                                        ; implicit-def: $vgpr46_vgpr47
                                        ; implicit-def: $vgpr44_vgpr45
                                        ; implicit-def: $vgpr58
                                        ; implicit-def: $vgpr54
.LBB3_496:
	s_andn2_saveexec_b64 s[92:93], s[38:39]
	s_cbranch_execz .LBB3_505
; %bb.497:
	flat_load_dword v0, v[46:47]
	flat_load_dword v1, v[44:45]
	v_writelane_b32 v61, s54, 6
	v_writelane_b32 v61, s55, 7
	;; [unrolled: 1-line block ×3, first 2 shown]
	v_mov_b32_e32 v2, v54
	v_mov_b32_e32 v3, v58
	v_mov_b32_e32 v4, v59
	v_mov_b32_e32 v5, v56
	v_mov_b32_e32 v6, v57
	v_writelane_b32 v61, s53, 9
	s_getpc_b64 s[4:5]
	s_add_u32 s4, s4, _ZN3sop14minatoIsop5RecEjjiPNS_3SopEP7VecsMemIjLi8192EE@rel32@lo+4
	s_addc_u32 s5, s5, _ZN3sop14minatoIsop5RecEjjiPNS_3SopEP7VecsMemIjLi8192EE@rel32@hi+12
	s_mov_b64 s[98:99], s[8:9]
	s_swappc_b64 s[30:31], s[4:5]
	s_and_saveexec_b64 s[6:7], s[90:91]
	s_cbranch_execz .LBB3_504
; %bb.498:
	v_cmp_ne_u32_e32 vcc, 1, v42
	s_and_saveexec_b64 s[4:5], vcc
	s_xor_b64 s[8:9], exec, s[4:5]
	s_cbranch_execz .LBB3_502
; %bb.499:
	v_accvgpr_read_b32 v2, a32
	v_and_b32_e32 v4, 0x7ffffffe, v42
	v_mov_b32_e32 v1, v0
	s_mov_b64 s[10:11], 0
	v_accvgpr_read_b32 v3, a33
.LBB3_500:                              ; =>This Inner Loop Header: Depth=1
	v_add_u32_e32 v4, -2, v4
	flat_store_dwordx2 v[2:3], v[0:1]
	v_add_co_u32_e32 v2, vcc, 8, v2
	v_cmp_eq_u32_e64 s[4:5], 0, v4
	s_or_b64 s[10:11], s[4:5], s[10:11]
	v_addc_co_u32_e32 v3, vcc, 0, v3, vcc
	s_andn2_b64 exec, exec, s[10:11]
	s_cbranch_execnz .LBB3_500
; %bb.501:
	s_or_b64 exec, exec, s[10:11]
                                        ; implicit-def: $vgpr0
.LBB3_502:
	s_andn2_saveexec_b64 s[4:5], s[8:9]
	s_cbranch_execz .LBB3_504
; %bb.503:
	v_accvgpr_read_b32 v2, a32
	v_accvgpr_read_b32 v3, a33
	flat_store_dword v[2:3], v0
.LBB3_504:
	s_or_b64 exec, exec, s[6:7]
	v_readlane_b32 s52, v61, 8
	v_readlane_b32 s54, v61, 6
	s_or_b64 s[94:95], s[94:95], exec
	s_mov_b64 s[8:9], s[98:99]
	v_readlane_b32 s53, v61, 9
	v_readlane_b32 s55, v61, 7
.LBB3_505:
	s_or_b64 exec, exec, s[92:93]
	v_readlane_b32 s4, v61, 2
	v_readlane_b32 s5, v61, 3
	s_andn2_b64 s[4:5], s[4:5], exec
	s_and_b64 s[6:7], s[96:97], exec
	s_or_b64 s[96:97], s[4:5], s[6:7]
	s_and_b64 s[4:5], s[94:95], exec
.LBB3_506:
	v_readlane_b32 s6, v61, 4
	v_readlane_b32 s7, v61, 5
	s_or_b64 exec, exec, s[6:7]
	s_andn2_b64 s[6:7], s[86:87], exec
	s_and_b64 s[10:11], s[96:97], exec
	s_or_b64 s[34:35], s[6:7], s[10:11]
	s_and_b64 s[28:29], s[4:5], exec
                                        ; implicit-def: $vgpr58_vgpr59
                                        ; implicit-def: $vgpr56_vgpr57
                                        ; implicit-def: $vgpr42
.LBB3_507:
	v_readlane_b32 s4, v61, 0
	v_readlane_b32 s5, v61, 1
	s_andn2_saveexec_b64 s[36:37], s[4:5]
	s_cbranch_execz .LBB3_659
; %bb.508:
	v_mov_b32_e32 v0, 0
	v_mov_b32_e32 v1, 1
	flat_store_dwordx2 v[58:59], v[0:1]
	flat_load_dword v2, v[56:57]
	s_movk_i32 s4, 0x2000
	s_mov_b64 s[38:39], s[28:29]
	s_waitcnt vmcnt(0) lgkmcnt(0)
	v_cmp_gt_i32_e32 vcc, s4, v2
	s_and_saveexec_b64 s[4:5], vcc
	s_xor_b64 s[4:5], exec, s[4:5]
	s_cbranch_execz .LBB3_518
; %bb.509:
	v_ashrrev_i32_e32 v3, 31, v2
	v_add_u32_e32 v1, 1, v2
	v_lshlrev_b64 v[2:3], 2, v[2:3]
	v_add_co_u32_e32 v2, vcc, v56, v2
	v_addc_co_u32_e32 v3, vcc, v57, v3, vcc
	v_add_co_u32_e32 v4, vcc, 4, v2
	v_addc_co_u32_e32 v5, vcc, 0, v3, vcc
	v_cmp_lt_i32_e32 vcc, 0, v42
	flat_store_dword v[56:57], v1
	flat_store_dwordx2 v[58:59], v[4:5] offset:8
	flat_store_dword v[2:3], v0 offset:4
	s_and_saveexec_b64 s[6:7], vcc
	s_cbranch_execz .LBB3_517
; %bb.510:
	v_cmp_ne_u32_e32 vcc, 1, v42
	s_and_saveexec_b64 s[10:11], vcc
	s_xor_b64 s[10:11], exec, s[10:11]
	s_cbranch_execz .LBB3_514
; %bb.511:
	v_accvgpr_read_b32 v0, a32
	v_accvgpr_read_b32 v1, a33
	v_add_co_u32_e32 v5, vcc, -4, v0
	v_mov_b32_e32 v2, -1
	v_and_b32_e32 v4, 0x7ffffffe, v42
	v_addc_co_u32_e32 v6, vcc, -1, v1, vcc
	v_add_u32_e32 v0, -1, v42
	s_mov_b64 s[12:13], 0
	v_mov_b32_e32 v1, 0
	v_mov_b32_e32 v3, v2
.LBB3_512:                              ; =>This Inner Loop Header: Depth=1
	v_lshlrev_b64 v[8:9], 2, v[0:1]
	v_add_co_u32_e32 v8, vcc, v5, v8
	v_add_u32_e32 v4, -2, v4
	v_addc_co_u32_e32 v9, vcc, v6, v9, vcc
	v_cmp_eq_u32_e32 vcc, 0, v4
	v_add_u32_e32 v0, -2, v0
	s_or_b64 s[12:13], vcc, s[12:13]
	flat_store_dwordx2 v[8:9], v[2:3]
	s_andn2_b64 exec, exec, s[12:13]
	s_cbranch_execnz .LBB3_512
; %bb.513:
	s_or_b64 exec, exec, s[12:13]
.LBB3_514:
	s_andn2_saveexec_b64 s[10:11], s[10:11]
	s_cbranch_execz .LBB3_517
; %bb.515:
	v_accvgpr_read_b32 v0, a32
	s_mov_b32 s10, 2
	v_mov_b32_e32 v2, -1
	v_accvgpr_read_b32 v1, a33
.LBB3_516:                              ; =>This Inner Loop Header: Depth=1
	flat_store_dword v[0:1], v2
	s_add_i32 s10, s10, -1
	v_add_co_u32_e32 v0, vcc, -4, v0
	s_cmp_lt_u32 s10, 2
	v_addc_co_u32_e32 v1, vcc, 3, v1, vcc
	s_cbranch_scc0 .LBB3_516
.LBB3_517:
	s_or_b64 exec, exec, s[6:7]
	s_or_b64 s[38:39], s[28:29], exec
.LBB3_518:
	s_or_saveexec_b64 s[40:41], s[4:5]
	s_mov_b64 s[4:5], s[34:35]
	s_xor_b64 exec, exec, s[40:41]
	s_cbranch_execz .LBB3_658
; %bb.519:
	s_load_dwordx2 s[6:7], s[8:9], 0x50
	v_mbcnt_lo_u32_b32 v0, -1, 0
	v_mbcnt_hi_u32_b32 v31, -1, v0
	v_readfirstlane_b32 s4, v31
	v_cmp_eq_u32_e64 s[4:5], s4, v31
	v_pk_mov_b32 v[6:7], 0, 0
	s_and_saveexec_b64 s[10:11], s[4:5]
	s_cbranch_execz .LBB3_525
; %bb.520:
	v_mov_b32_e32 v0, 0
	s_waitcnt lgkmcnt(0)
	global_load_dwordx2 v[4:5], v0, s[6:7] offset:24 glc
	s_waitcnt vmcnt(0)
	buffer_invl2
	buffer_wbinvl1_vol
	global_load_dwordx2 v[2:3], v0, s[6:7] offset:40
	global_load_dwordx2 v[6:7], v0, s[6:7]
	s_waitcnt vmcnt(1)
	v_and_b32_e32 v1, v2, v4
	v_and_b32_e32 v2, v3, v5
	v_mul_lo_u32 v2, v2, 24
	v_mul_hi_u32 v3, v1, 24
	v_mul_lo_u32 v1, v1, 24
	v_add_u32_e32 v3, v3, v2
	s_waitcnt vmcnt(0)
	v_add_co_u32_e32 v2, vcc, v6, v1
	v_addc_co_u32_e32 v3, vcc, v7, v3, vcc
	global_load_dwordx2 v[2:3], v[2:3], off glc
	s_waitcnt vmcnt(0)
	global_atomic_cmpswap_x2 v[6:7], v0, v[2:5], s[6:7] offset:24 glc
	s_waitcnt vmcnt(0)
	buffer_invl2
	buffer_wbinvl1_vol
	v_cmp_ne_u64_e32 vcc, v[6:7], v[4:5]
	s_and_saveexec_b64 s[12:13], vcc
	s_cbranch_execz .LBB3_524
; %bb.521:
	s_mov_b64 s[14:15], 0
.LBB3_522:                              ; =>This Inner Loop Header: Depth=1
	s_sleep 1
	global_load_dwordx2 v[2:3], v0, s[6:7] offset:40
	global_load_dwordx2 v[8:9], v0, s[6:7]
	v_pk_mov_b32 v[4:5], v[6:7], v[6:7] op_sel:[0,1]
	s_waitcnt vmcnt(1)
	v_and_b32_e32 v2, v2, v4
	v_and_b32_e32 v1, v3, v5
	s_waitcnt vmcnt(0)
	v_mad_u64_u32 v[2:3], s[16:17], v2, 24, v[8:9]
	v_mov_b32_e32 v6, v3
	v_mad_u64_u32 v[6:7], s[16:17], v1, 24, v[6:7]
	v_mov_b32_e32 v3, v6
	global_load_dwordx2 v[2:3], v[2:3], off glc
	s_waitcnt vmcnt(0)
	global_atomic_cmpswap_x2 v[6:7], v0, v[2:5], s[6:7] offset:24 glc
	s_waitcnt vmcnt(0)
	buffer_invl2
	buffer_wbinvl1_vol
	v_cmp_eq_u64_e32 vcc, v[6:7], v[4:5]
	s_or_b64 s[14:15], vcc, s[14:15]
	s_andn2_b64 exec, exec, s[14:15]
	s_cbranch_execnz .LBB3_522
; %bb.523:
	s_or_b64 exec, exec, s[14:15]
.LBB3_524:
	s_or_b64 exec, exec, s[12:13]
.LBB3_525:
	s_or_b64 exec, exec, s[10:11]
	v_mov_b32_e32 v5, 0
	s_waitcnt lgkmcnt(0)
	global_load_dwordx2 v[8:9], v5, s[6:7] offset:40
	global_load_dwordx4 v[0:3], v5, s[6:7]
	v_readfirstlane_b32 s10, v6
	v_readfirstlane_b32 s11, v7
	s_mov_b64 s[12:13], exec
	s_waitcnt vmcnt(0)
	v_readfirstlane_b32 s14, v8
	v_readfirstlane_b32 s15, v9
	s_and_b64 s[14:15], s[10:11], s[14:15]
	s_mul_i32 s16, s15, 24
	s_mul_hi_u32 s17, s14, 24
	s_mul_i32 s18, s14, 24
	s_add_i32 s16, s17, s16
	v_mov_b32_e32 v4, s16
	v_add_co_u32_e32 v8, vcc, s18, v0
	v_addc_co_u32_e32 v9, vcc, v1, v4, vcc
	s_and_saveexec_b64 s[16:17], s[4:5]
	s_cbranch_execz .LBB3_527
; %bb.526:
	v_pk_mov_b32 v[10:11], s[12:13], s[12:13] op_sel:[0,1]
	v_mov_b32_e32 v12, 2
	v_mov_b32_e32 v13, 1
	global_store_dwordx4 v[8:9], v[10:13], off offset:8
.LBB3_527:
	s_or_b64 exec, exec, s[16:17]
	s_lshl_b64 s[12:13], s[14:15], 12
	v_mov_b32_e32 v4, s13
	v_add_co_u32_e32 v2, vcc, s12, v2
	v_addc_co_u32_e32 v3, vcc, v3, v4, vcc
	s_mov_b32 s12, 0
	v_lshlrev_b32_e32 v30, 6, v31
	v_add_co_u32_e32 v10, vcc, v2, v30
	v_mov_b32_e32 v4, 33
	v_mov_b32_e32 v6, v5
	;; [unrolled: 1-line block ×3, first 2 shown]
	v_readfirstlane_b32 s16, v2
	v_readfirstlane_b32 s17, v3
	s_mov_b32 s13, s12
	v_addc_co_u32_e32 v11, vcc, 0, v3, vcc
	s_mov_b32 s14, s12
	s_mov_b32 s15, s12
	s_nop 0
	global_store_dwordx4 v30, v[4:7], s[16:17]
	v_pk_mov_b32 v[2:3], s[12:13], s[12:13] op_sel:[0,1]
	v_pk_mov_b32 v[4:5], s[14:15], s[14:15] op_sel:[0,1]
	global_store_dwordx4 v30, v[2:5], s[16:17] offset:16
	global_store_dwordx4 v30, v[2:5], s[16:17] offset:32
	;; [unrolled: 1-line block ×3, first 2 shown]
	s_and_saveexec_b64 s[12:13], s[4:5]
	s_cbranch_execz .LBB3_535
; %bb.528:
	v_mov_b32_e32 v6, 0
	global_load_dwordx2 v[14:15], v6, s[6:7] offset:32 glc
	global_load_dwordx2 v[2:3], v6, s[6:7] offset:40
	v_mov_b32_e32 v12, s10
	v_mov_b32_e32 v13, s11
	s_waitcnt vmcnt(0)
	v_and_b32_e32 v2, s10, v2
	v_and_b32_e32 v3, s11, v3
	v_mul_lo_u32 v3, v3, 24
	v_mul_hi_u32 v4, v2, 24
	v_mul_lo_u32 v2, v2, 24
	v_add_u32_e32 v3, v4, v3
	v_add_co_u32_e32 v4, vcc, v0, v2
	v_addc_co_u32_e32 v5, vcc, v1, v3, vcc
	global_store_dwordx2 v[4:5], v[14:15], off
	buffer_wbl2
	s_waitcnt vmcnt(0)
	global_atomic_cmpswap_x2 v[2:3], v6, v[12:15], s[6:7] offset:32 glc
	s_waitcnt vmcnt(0)
	v_cmp_ne_u64_e32 vcc, v[2:3], v[14:15]
	s_and_saveexec_b64 s[14:15], vcc
	s_cbranch_execz .LBB3_531
; %bb.529:
	s_mov_b64 s[16:17], 0
.LBB3_530:                              ; =>This Inner Loop Header: Depth=1
	s_sleep 1
	global_store_dwordx2 v[4:5], v[2:3], off
	v_mov_b32_e32 v0, s10
	v_mov_b32_e32 v1, s11
	buffer_wbl2
	s_waitcnt vmcnt(0)
	global_atomic_cmpswap_x2 v[0:1], v6, v[0:3], s[6:7] offset:32 glc
	s_waitcnt vmcnt(0)
	v_cmp_eq_u64_e32 vcc, v[0:1], v[2:3]
	s_or_b64 s[16:17], vcc, s[16:17]
	v_pk_mov_b32 v[2:3], v[0:1], v[0:1] op_sel:[0,1]
	s_andn2_b64 exec, exec, s[16:17]
	s_cbranch_execnz .LBB3_530
.LBB3_531:
	s_or_b64 exec, exec, s[14:15]
	v_mov_b32_e32 v3, 0
	global_load_dwordx2 v[0:1], v3, s[6:7] offset:16
	s_mov_b64 s[14:15], exec
	v_mbcnt_lo_u32_b32 v2, s14, 0
	v_mbcnt_hi_u32_b32 v2, s15, v2
	v_cmp_eq_u32_e32 vcc, 0, v2
	s_and_saveexec_b64 s[16:17], vcc
	s_cbranch_execz .LBB3_533
; %bb.532:
	s_bcnt1_i32_b64 s14, s[14:15]
	v_mov_b32_e32 v2, s14
	buffer_wbl2
	s_waitcnt vmcnt(0)
	global_atomic_add_x2 v[0:1], v[2:3], off offset:8
.LBB3_533:
	s_or_b64 exec, exec, s[16:17]
	s_waitcnt vmcnt(0)
	global_load_dwordx2 v[2:3], v[0:1], off offset:16
	s_waitcnt vmcnt(0)
	v_cmp_eq_u64_e32 vcc, 0, v[2:3]
	s_cbranch_vccnz .LBB3_535
; %bb.534:
	global_load_dword v0, v[0:1], off offset:24
	v_mov_b32_e32 v1, 0
	buffer_wbl2
	s_waitcnt vmcnt(0)
	global_store_dwordx2 v[2:3], v[0:1], off
	v_and_b32_e32 v0, 0xffffff, v0
	v_readfirstlane_b32 m0, v0
	s_sendmsg sendmsg(MSG_INTERRUPT)
.LBB3_535:
	s_or_b64 exec, exec, s[12:13]
	s_branch .LBB3_539
.LBB3_536:                              ;   in Loop: Header=BB3_539 Depth=1
	s_or_b64 exec, exec, s[12:13]
	v_readfirstlane_b32 s12, v0
	s_cmp_eq_u32 s12, 0
	s_cbranch_scc1 .LBB3_538
; %bb.537:                              ;   in Loop: Header=BB3_539 Depth=1
	s_sleep 1
	s_cbranch_execnz .LBB3_539
	s_branch .LBB3_541
.LBB3_538:
	s_branch .LBB3_541
.LBB3_539:                              ; =>This Inner Loop Header: Depth=1
	v_mov_b32_e32 v0, 1
	s_and_saveexec_b64 s[12:13], s[4:5]
	s_cbranch_execz .LBB3_536
; %bb.540:                              ;   in Loop: Header=BB3_539 Depth=1
	global_load_dword v0, v[8:9], off offset:20 glc
	s_waitcnt vmcnt(0)
	buffer_invl2
	buffer_wbinvl1_vol
	v_and_b32_e32 v0, 1, v0
	s_branch .LBB3_536
.LBB3_541:
	global_load_dwordx2 v[0:1], v[10:11], off
	s_and_saveexec_b64 s[12:13], s[4:5]
	s_cbranch_execz .LBB3_544
; %bb.542:
	v_mov_b32_e32 v8, 0
	global_load_dwordx2 v[6:7], v8, s[6:7] offset:40
	global_load_dwordx2 v[10:11], v8, s[6:7] offset:24 glc
	global_load_dwordx2 v[12:13], v8, s[6:7]
	v_mov_b32_e32 v3, s11
	s_mov_b64 s[4:5], 0
	s_waitcnt vmcnt(2)
	v_add_co_u32_e32 v5, vcc, 1, v6
	v_addc_co_u32_e32 v9, vcc, 0, v7, vcc
	v_add_co_u32_e32 v2, vcc, s10, v5
	v_addc_co_u32_e32 v3, vcc, v9, v3, vcc
	v_cmp_eq_u64_e32 vcc, 0, v[2:3]
	v_cndmask_b32_e32 v3, v3, v9, vcc
	v_cndmask_b32_e32 v2, v2, v5, vcc
	v_and_b32_e32 v5, v3, v7
	v_and_b32_e32 v6, v2, v6
	v_mul_lo_u32 v5, v5, 24
	v_mul_hi_u32 v7, v6, 24
	v_mul_lo_u32 v6, v6, 24
	v_add_u32_e32 v5, v7, v5
	s_waitcnt vmcnt(0)
	v_add_co_u32_e32 v6, vcc, v12, v6
	v_addc_co_u32_e32 v7, vcc, v13, v5, vcc
	v_mov_b32_e32 v4, v10
	global_store_dwordx2 v[6:7], v[10:11], off
	v_mov_b32_e32 v5, v11
	buffer_wbl2
	s_waitcnt vmcnt(0)
	global_atomic_cmpswap_x2 v[4:5], v8, v[2:5], s[6:7] offset:24 glc
	s_waitcnt vmcnt(0)
	v_cmp_ne_u64_e32 vcc, v[4:5], v[10:11]
	s_and_b64 exec, exec, vcc
	s_cbranch_execz .LBB3_544
.LBB3_543:                              ; =>This Inner Loop Header: Depth=1
	s_sleep 1
	global_store_dwordx2 v[6:7], v[4:5], off
	buffer_wbl2
	s_waitcnt vmcnt(0)
	global_atomic_cmpswap_x2 v[10:11], v8, v[2:5], s[6:7] offset:24 glc
	s_waitcnt vmcnt(0)
	v_cmp_eq_u64_e32 vcc, v[10:11], v[4:5]
	s_or_b64 s[4:5], vcc, s[4:5]
	v_pk_mov_b32 v[4:5], v[10:11], v[10:11] op_sel:[0,1]
	s_andn2_b64 exec, exec, s[4:5]
	s_cbranch_execnz .LBB3_543
.LBB3_544:
	s_or_b64 exec, exec, s[12:13]
	s_getpc_b64 s[10:11]
	s_add_u32 s10, s10, .str.28@rel32@lo+4
	s_addc_u32 s11, s11, .str.28@rel32@hi+12
	s_cmp_lg_u64 s[10:11], 0
	s_cbranch_scc0 .LBB3_629
; %bb.545:
	s_waitcnt vmcnt(0)
	v_and_b32_e32 v6, -3, v0
	v_mov_b32_e32 v7, v1
	s_mov_b64 s[12:13], 35
	v_mov_b32_e32 v27, 0
	v_mov_b32_e32 v4, 2
	;; [unrolled: 1-line block ×3, first 2 shown]
	s_branch .LBB3_547
.LBB3_546:                              ;   in Loop: Header=BB3_547 Depth=1
	s_or_b64 exec, exec, s[18:19]
	s_sub_u32 s12, s12, s14
	s_subb_u32 s13, s13, s15
	s_add_u32 s10, s10, s14
	s_addc_u32 s11, s11, s15
	s_cmp_lg_u64 s[12:13], 0
	s_cbranch_scc0 .LBB3_628
.LBB3_547:                              ; =>This Loop Header: Depth=1
                                        ;     Child Loop BB3_550 Depth 2
                                        ;     Child Loop BB3_557 Depth 2
	;; [unrolled: 1-line block ×11, first 2 shown]
	v_cmp_lt_u64_e64 s[4:5], s[12:13], 56
	s_and_b64 s[4:5], s[4:5], exec
	v_cmp_gt_u64_e64 s[4:5], s[12:13], 7
	s_cselect_b32 s15, s13, 0
	s_cselect_b32 s14, s12, 56
	s_and_b64 vcc, exec, s[4:5]
	s_cbranch_vccnz .LBB3_552
; %bb.548:                              ;   in Loop: Header=BB3_547 Depth=1
	s_mov_b64 s[4:5], 0
	s_cmp_eq_u64 s[12:13], 0
	s_waitcnt vmcnt(0)
	v_pk_mov_b32 v[8:9], 0, 0
	s_cbranch_scc1 .LBB3_551
; %bb.549:                              ;   in Loop: Header=BB3_547 Depth=1
	s_lshl_b64 s[16:17], s[14:15], 3
	s_mov_b64 s[18:19], 0
	v_pk_mov_b32 v[8:9], 0, 0
	s_mov_b64 s[20:21], s[10:11]
.LBB3_550:                              ;   Parent Loop BB3_547 Depth=1
                                        ; =>  This Inner Loop Header: Depth=2
	global_load_ubyte v2, v27, s[20:21]
	s_waitcnt vmcnt(0)
	v_and_b32_e32 v26, 0xffff, v2
	v_lshlrev_b64 v[2:3], s18, v[26:27]
	s_add_u32 s18, s18, 8
	s_addc_u32 s19, s19, 0
	s_add_u32 s20, s20, 1
	s_addc_u32 s21, s21, 0
	v_or_b32_e32 v8, v2, v8
	s_cmp_lg_u32 s16, s18
	v_or_b32_e32 v9, v3, v9
	s_cbranch_scc1 .LBB3_550
.LBB3_551:                              ;   in Loop: Header=BB3_547 Depth=1
	s_mov_b32 s20, 0
	s_andn2_b64 vcc, exec, s[4:5]
	s_mov_b64 s[4:5], s[10:11]
	s_cbranch_vccz .LBB3_553
	s_branch .LBB3_554
.LBB3_552:                              ;   in Loop: Header=BB3_547 Depth=1
                                        ; implicit-def: $sgpr20
	s_mov_b64 s[4:5], s[10:11]
.LBB3_553:                              ;   in Loop: Header=BB3_547 Depth=1
	global_load_dwordx2 v[8:9], v27, s[10:11]
	s_add_i32 s20, s14, -8
	s_add_u32 s4, s10, 8
	s_addc_u32 s5, s11, 0
.LBB3_554:                              ;   in Loop: Header=BB3_547 Depth=1
	s_cmp_gt_u32 s20, 7
	s_cbranch_scc1 .LBB3_558
; %bb.555:                              ;   in Loop: Header=BB3_547 Depth=1
	s_cmp_eq_u32 s20, 0
	s_cbranch_scc1 .LBB3_559
; %bb.556:                              ;   in Loop: Header=BB3_547 Depth=1
	s_mov_b64 s[16:17], 0
	v_pk_mov_b32 v[10:11], 0, 0
	s_mov_b64 s[18:19], 0
.LBB3_557:                              ;   Parent Loop BB3_547 Depth=1
                                        ; =>  This Inner Loop Header: Depth=2
	s_add_u32 s22, s4, s18
	s_addc_u32 s23, s5, s19
	global_load_ubyte v2, v27, s[22:23]
	s_add_u32 s18, s18, 1
	s_addc_u32 s19, s19, 0
	s_waitcnt vmcnt(0)
	v_and_b32_e32 v26, 0xffff, v2
	v_lshlrev_b64 v[2:3], s16, v[26:27]
	s_add_u32 s16, s16, 8
	s_addc_u32 s17, s17, 0
	v_or_b32_e32 v10, v2, v10
	s_cmp_lg_u32 s20, s18
	v_or_b32_e32 v11, v3, v11
	s_cbranch_scc1 .LBB3_557
	s_branch .LBB3_560
.LBB3_558:                              ;   in Loop: Header=BB3_547 Depth=1
                                        ; implicit-def: $vgpr10_vgpr11
                                        ; implicit-def: $sgpr21
	s_branch .LBB3_561
.LBB3_559:                              ;   in Loop: Header=BB3_547 Depth=1
	v_pk_mov_b32 v[10:11], 0, 0
.LBB3_560:                              ;   in Loop: Header=BB3_547 Depth=1
	s_mov_b32 s21, 0
	s_cbranch_execnz .LBB3_562
.LBB3_561:                              ;   in Loop: Header=BB3_547 Depth=1
	global_load_dwordx2 v[10:11], v27, s[4:5]
	s_add_i32 s21, s20, -8
	s_add_u32 s4, s4, 8
	s_addc_u32 s5, s5, 0
.LBB3_562:                              ;   in Loop: Header=BB3_547 Depth=1
	s_cmp_gt_u32 s21, 7
	s_cbranch_scc1 .LBB3_566
; %bb.563:                              ;   in Loop: Header=BB3_547 Depth=1
	s_cmp_eq_u32 s21, 0
	s_cbranch_scc1 .LBB3_567
; %bb.564:                              ;   in Loop: Header=BB3_547 Depth=1
	s_mov_b64 s[16:17], 0
	v_pk_mov_b32 v[12:13], 0, 0
	s_mov_b64 s[18:19], 0
.LBB3_565:                              ;   Parent Loop BB3_547 Depth=1
                                        ; =>  This Inner Loop Header: Depth=2
	s_add_u32 s22, s4, s18
	s_addc_u32 s23, s5, s19
	global_load_ubyte v2, v27, s[22:23]
	s_add_u32 s18, s18, 1
	s_addc_u32 s19, s19, 0
	s_waitcnt vmcnt(0)
	v_and_b32_e32 v26, 0xffff, v2
	v_lshlrev_b64 v[2:3], s16, v[26:27]
	s_add_u32 s16, s16, 8
	s_addc_u32 s17, s17, 0
	v_or_b32_e32 v12, v2, v12
	s_cmp_lg_u32 s21, s18
	v_or_b32_e32 v13, v3, v13
	s_cbranch_scc1 .LBB3_565
	s_branch .LBB3_568
.LBB3_566:                              ;   in Loop: Header=BB3_547 Depth=1
                                        ; implicit-def: $sgpr20
	s_branch .LBB3_569
.LBB3_567:                              ;   in Loop: Header=BB3_547 Depth=1
	v_pk_mov_b32 v[12:13], 0, 0
.LBB3_568:                              ;   in Loop: Header=BB3_547 Depth=1
	s_mov_b32 s20, 0
	s_cbranch_execnz .LBB3_570
.LBB3_569:                              ;   in Loop: Header=BB3_547 Depth=1
	global_load_dwordx2 v[12:13], v27, s[4:5]
	s_add_i32 s20, s21, -8
	s_add_u32 s4, s4, 8
	s_addc_u32 s5, s5, 0
.LBB3_570:                              ;   in Loop: Header=BB3_547 Depth=1
	s_cmp_gt_u32 s20, 7
	s_cbranch_scc1 .LBB3_574
; %bb.571:                              ;   in Loop: Header=BB3_547 Depth=1
	s_cmp_eq_u32 s20, 0
	s_cbranch_scc1 .LBB3_575
; %bb.572:                              ;   in Loop: Header=BB3_547 Depth=1
	s_mov_b64 s[16:17], 0
	v_pk_mov_b32 v[14:15], 0, 0
	s_mov_b64 s[18:19], 0
.LBB3_573:                              ;   Parent Loop BB3_547 Depth=1
                                        ; =>  This Inner Loop Header: Depth=2
	s_add_u32 s22, s4, s18
	s_addc_u32 s23, s5, s19
	global_load_ubyte v2, v27, s[22:23]
	s_add_u32 s18, s18, 1
	s_addc_u32 s19, s19, 0
	s_waitcnt vmcnt(0)
	v_and_b32_e32 v26, 0xffff, v2
	v_lshlrev_b64 v[2:3], s16, v[26:27]
	s_add_u32 s16, s16, 8
	s_addc_u32 s17, s17, 0
	v_or_b32_e32 v14, v2, v14
	s_cmp_lg_u32 s20, s18
	v_or_b32_e32 v15, v3, v15
	s_cbranch_scc1 .LBB3_573
	s_branch .LBB3_576
.LBB3_574:                              ;   in Loop: Header=BB3_547 Depth=1
                                        ; implicit-def: $vgpr14_vgpr15
                                        ; implicit-def: $sgpr21
	s_branch .LBB3_577
.LBB3_575:                              ;   in Loop: Header=BB3_547 Depth=1
	v_pk_mov_b32 v[14:15], 0, 0
.LBB3_576:                              ;   in Loop: Header=BB3_547 Depth=1
	s_mov_b32 s21, 0
	s_cbranch_execnz .LBB3_578
.LBB3_577:                              ;   in Loop: Header=BB3_547 Depth=1
	global_load_dwordx2 v[14:15], v27, s[4:5]
	s_add_i32 s21, s20, -8
	s_add_u32 s4, s4, 8
	s_addc_u32 s5, s5, 0
.LBB3_578:                              ;   in Loop: Header=BB3_547 Depth=1
	s_cmp_gt_u32 s21, 7
	s_cbranch_scc1 .LBB3_582
; %bb.579:                              ;   in Loop: Header=BB3_547 Depth=1
	s_cmp_eq_u32 s21, 0
	s_cbranch_scc1 .LBB3_583
; %bb.580:                              ;   in Loop: Header=BB3_547 Depth=1
	s_mov_b64 s[16:17], 0
	v_pk_mov_b32 v[16:17], 0, 0
	s_mov_b64 s[18:19], 0
.LBB3_581:                              ;   Parent Loop BB3_547 Depth=1
                                        ; =>  This Inner Loop Header: Depth=2
	s_add_u32 s22, s4, s18
	s_addc_u32 s23, s5, s19
	global_load_ubyte v2, v27, s[22:23]
	s_add_u32 s18, s18, 1
	s_addc_u32 s19, s19, 0
	s_waitcnt vmcnt(0)
	v_and_b32_e32 v26, 0xffff, v2
	v_lshlrev_b64 v[2:3], s16, v[26:27]
	s_add_u32 s16, s16, 8
	s_addc_u32 s17, s17, 0
	v_or_b32_e32 v16, v2, v16
	s_cmp_lg_u32 s21, s18
	v_or_b32_e32 v17, v3, v17
	s_cbranch_scc1 .LBB3_581
	s_branch .LBB3_584
.LBB3_582:                              ;   in Loop: Header=BB3_547 Depth=1
                                        ; implicit-def: $sgpr20
	s_branch .LBB3_585
.LBB3_583:                              ;   in Loop: Header=BB3_547 Depth=1
	v_pk_mov_b32 v[16:17], 0, 0
.LBB3_584:                              ;   in Loop: Header=BB3_547 Depth=1
	s_mov_b32 s20, 0
	s_cbranch_execnz .LBB3_586
.LBB3_585:                              ;   in Loop: Header=BB3_547 Depth=1
	global_load_dwordx2 v[16:17], v27, s[4:5]
	s_add_i32 s20, s21, -8
	s_add_u32 s4, s4, 8
	s_addc_u32 s5, s5, 0
.LBB3_586:                              ;   in Loop: Header=BB3_547 Depth=1
	s_cmp_gt_u32 s20, 7
	s_cbranch_scc1 .LBB3_590
; %bb.587:                              ;   in Loop: Header=BB3_547 Depth=1
	s_cmp_eq_u32 s20, 0
	s_cbranch_scc1 .LBB3_591
; %bb.588:                              ;   in Loop: Header=BB3_547 Depth=1
	s_mov_b64 s[16:17], 0
	v_pk_mov_b32 v[18:19], 0, 0
	s_mov_b64 s[18:19], 0
.LBB3_589:                              ;   Parent Loop BB3_547 Depth=1
                                        ; =>  This Inner Loop Header: Depth=2
	s_add_u32 s22, s4, s18
	s_addc_u32 s23, s5, s19
	global_load_ubyte v2, v27, s[22:23]
	s_add_u32 s18, s18, 1
	s_addc_u32 s19, s19, 0
	s_waitcnt vmcnt(0)
	v_and_b32_e32 v26, 0xffff, v2
	v_lshlrev_b64 v[2:3], s16, v[26:27]
	s_add_u32 s16, s16, 8
	s_addc_u32 s17, s17, 0
	v_or_b32_e32 v18, v2, v18
	s_cmp_lg_u32 s20, s18
	v_or_b32_e32 v19, v3, v19
	s_cbranch_scc1 .LBB3_589
	s_branch .LBB3_592
.LBB3_590:                              ;   in Loop: Header=BB3_547 Depth=1
                                        ; implicit-def: $vgpr18_vgpr19
                                        ; implicit-def: $sgpr21
	s_branch .LBB3_593
.LBB3_591:                              ;   in Loop: Header=BB3_547 Depth=1
	v_pk_mov_b32 v[18:19], 0, 0
.LBB3_592:                              ;   in Loop: Header=BB3_547 Depth=1
	s_mov_b32 s21, 0
	s_cbranch_execnz .LBB3_594
.LBB3_593:                              ;   in Loop: Header=BB3_547 Depth=1
	global_load_dwordx2 v[18:19], v27, s[4:5]
	s_add_i32 s21, s20, -8
	s_add_u32 s4, s4, 8
	s_addc_u32 s5, s5, 0
.LBB3_594:                              ;   in Loop: Header=BB3_547 Depth=1
	s_cmp_gt_u32 s21, 7
	s_cbranch_scc1 .LBB3_598
; %bb.595:                              ;   in Loop: Header=BB3_547 Depth=1
	s_cmp_eq_u32 s21, 0
	s_cbranch_scc1 .LBB3_599
; %bb.596:                              ;   in Loop: Header=BB3_547 Depth=1
	s_mov_b64 s[16:17], 0
	v_pk_mov_b32 v[20:21], 0, 0
	s_mov_b64 s[18:19], s[4:5]
.LBB3_597:                              ;   Parent Loop BB3_547 Depth=1
                                        ; =>  This Inner Loop Header: Depth=2
	global_load_ubyte v2, v27, s[18:19]
	s_add_i32 s21, s21, -1
	s_waitcnt vmcnt(0)
	v_and_b32_e32 v26, 0xffff, v2
	v_lshlrev_b64 v[2:3], s16, v[26:27]
	s_add_u32 s16, s16, 8
	s_addc_u32 s17, s17, 0
	s_add_u32 s18, s18, 1
	s_addc_u32 s19, s19, 0
	v_or_b32_e32 v20, v2, v20
	s_cmp_lg_u32 s21, 0
	v_or_b32_e32 v21, v3, v21
	s_cbranch_scc1 .LBB3_597
	s_branch .LBB3_600
.LBB3_598:                              ;   in Loop: Header=BB3_547 Depth=1
	s_branch .LBB3_601
.LBB3_599:                              ;   in Loop: Header=BB3_547 Depth=1
	v_pk_mov_b32 v[20:21], 0, 0
.LBB3_600:                              ;   in Loop: Header=BB3_547 Depth=1
	s_cbranch_execnz .LBB3_602
.LBB3_601:                              ;   in Loop: Header=BB3_547 Depth=1
	global_load_dwordx2 v[20:21], v27, s[4:5]
.LBB3_602:                              ;   in Loop: Header=BB3_547 Depth=1
	v_readfirstlane_b32 s4, v31
	v_cmp_eq_u32_e64 s[4:5], s4, v31
	v_pk_mov_b32 v[2:3], 0, 0
	s_and_saveexec_b64 s[16:17], s[4:5]
	s_cbranch_execz .LBB3_608
; %bb.603:                              ;   in Loop: Header=BB3_547 Depth=1
	global_load_dwordx2 v[24:25], v27, s[6:7] offset:24 glc
	s_waitcnt vmcnt(0)
	buffer_invl2
	buffer_wbinvl1_vol
	global_load_dwordx2 v[2:3], v27, s[6:7] offset:40
	global_load_dwordx2 v[22:23], v27, s[6:7]
	s_waitcnt vmcnt(1)
	v_and_b32_e32 v2, v2, v24
	v_and_b32_e32 v3, v3, v25
	v_mul_lo_u32 v3, v3, 24
	v_mul_hi_u32 v26, v2, 24
	v_mul_lo_u32 v2, v2, 24
	v_add_u32_e32 v3, v26, v3
	s_waitcnt vmcnt(0)
	v_add_co_u32_e32 v2, vcc, v22, v2
	v_addc_co_u32_e32 v3, vcc, v23, v3, vcc
	global_load_dwordx2 v[22:23], v[2:3], off glc
	s_waitcnt vmcnt(0)
	global_atomic_cmpswap_x2 v[2:3], v27, v[22:25], s[6:7] offset:24 glc
	s_waitcnt vmcnt(0)
	buffer_invl2
	buffer_wbinvl1_vol
	v_cmp_ne_u64_e32 vcc, v[2:3], v[24:25]
	s_and_saveexec_b64 s[18:19], vcc
	s_cbranch_execz .LBB3_607
; %bb.604:                              ;   in Loop: Header=BB3_547 Depth=1
	s_mov_b64 s[20:21], 0
.LBB3_605:                              ;   Parent Loop BB3_547 Depth=1
                                        ; =>  This Inner Loop Header: Depth=2
	s_sleep 1
	global_load_dwordx2 v[22:23], v27, s[6:7] offset:40
	global_load_dwordx2 v[28:29], v27, s[6:7]
	v_pk_mov_b32 v[24:25], v[2:3], v[2:3] op_sel:[0,1]
	s_waitcnt vmcnt(1)
	v_and_b32_e32 v2, v22, v24
	s_waitcnt vmcnt(0)
	v_mad_u64_u32 v[2:3], s[22:23], v2, 24, v[28:29]
	v_and_b32_e32 v23, v23, v25
	v_mov_b32_e32 v22, v3
	v_mad_u64_u32 v[22:23], s[22:23], v23, 24, v[22:23]
	v_mov_b32_e32 v3, v22
	global_load_dwordx2 v[22:23], v[2:3], off glc
	s_waitcnt vmcnt(0)
	global_atomic_cmpswap_x2 v[2:3], v27, v[22:25], s[6:7] offset:24 glc
	s_waitcnt vmcnt(0)
	buffer_invl2
	buffer_wbinvl1_vol
	v_cmp_eq_u64_e32 vcc, v[2:3], v[24:25]
	s_or_b64 s[20:21], vcc, s[20:21]
	s_andn2_b64 exec, exec, s[20:21]
	s_cbranch_execnz .LBB3_605
; %bb.606:                              ;   in Loop: Header=BB3_547 Depth=1
	s_or_b64 exec, exec, s[20:21]
.LBB3_607:                              ;   in Loop: Header=BB3_547 Depth=1
	s_or_b64 exec, exec, s[18:19]
.LBB3_608:                              ;   in Loop: Header=BB3_547 Depth=1
	s_or_b64 exec, exec, s[16:17]
	global_load_dwordx2 v[28:29], v27, s[6:7] offset:40
	global_load_dwordx4 v[22:25], v27, s[6:7]
	v_readfirstlane_b32 s16, v2
	v_readfirstlane_b32 s17, v3
	s_mov_b64 s[18:19], exec
	s_waitcnt vmcnt(1)
	v_readfirstlane_b32 s20, v28
	v_readfirstlane_b32 s21, v29
	s_and_b64 s[20:21], s[16:17], s[20:21]
	s_mul_i32 s22, s21, 24
	s_mul_hi_u32 s23, s20, 24
	s_mul_i32 s24, s20, 24
	s_add_i32 s22, s23, s22
	v_mov_b32_e32 v2, s22
	s_waitcnt vmcnt(0)
	v_add_co_u32_e32 v28, vcc, s24, v22
	v_addc_co_u32_e32 v29, vcc, v23, v2, vcc
	s_and_saveexec_b64 s[22:23], s[4:5]
	s_cbranch_execz .LBB3_610
; %bb.609:                              ;   in Loop: Header=BB3_547 Depth=1
	v_pk_mov_b32 v[2:3], s[18:19], s[18:19] op_sel:[0,1]
	global_store_dwordx4 v[28:29], v[2:5], off offset:8
.LBB3_610:                              ;   in Loop: Header=BB3_547 Depth=1
	s_or_b64 exec, exec, s[22:23]
	s_lshl_b64 s[18:19], s[20:21], 12
	v_mov_b32_e32 v3, s19
	v_add_co_u32_e32 v2, vcc, s18, v24
	v_addc_co_u32_e32 v3, vcc, v25, v3, vcc
	v_or_b32_e32 v24, 2, v6
	v_cmp_gt_u64_e64 vcc, s[12:13], 56
	s_lshl_b32 s18, s14, 2
	v_cndmask_b32_e32 v6, v24, v6, vcc
	s_add_i32 s18, s18, 28
	s_and_b32 s18, s18, 0x1e0
	v_and_b32_e32 v6, 0xffffff1f, v6
	v_or_b32_e32 v6, s18, v6
	v_readfirstlane_b32 s18, v2
	v_readfirstlane_b32 s19, v3
	s_nop 4
	global_store_dwordx4 v30, v[6:9], s[18:19]
	global_store_dwordx4 v30, v[10:13], s[18:19] offset:16
	global_store_dwordx4 v30, v[14:17], s[18:19] offset:32
	;; [unrolled: 1-line block ×3, first 2 shown]
	s_and_saveexec_b64 s[18:19], s[4:5]
	s_cbranch_execz .LBB3_618
; %bb.611:                              ;   in Loop: Header=BB3_547 Depth=1
	global_load_dwordx2 v[14:15], v27, s[6:7] offset:32 glc
	global_load_dwordx2 v[6:7], v27, s[6:7] offset:40
	v_mov_b32_e32 v12, s16
	v_mov_b32_e32 v13, s17
	s_waitcnt vmcnt(0)
	v_readfirstlane_b32 s20, v6
	v_readfirstlane_b32 s21, v7
	s_and_b64 s[20:21], s[20:21], s[16:17]
	s_mul_i32 s21, s21, 24
	s_mul_hi_u32 s22, s20, 24
	s_mul_i32 s20, s20, 24
	s_add_i32 s21, s22, s21
	v_mov_b32_e32 v6, s21
	v_add_co_u32_e32 v10, vcc, s20, v22
	v_addc_co_u32_e32 v11, vcc, v23, v6, vcc
	global_store_dwordx2 v[10:11], v[14:15], off
	buffer_wbl2
	s_waitcnt vmcnt(0)
	global_atomic_cmpswap_x2 v[8:9], v27, v[12:15], s[6:7] offset:32 glc
	s_waitcnt vmcnt(0)
	v_cmp_ne_u64_e32 vcc, v[8:9], v[14:15]
	s_and_saveexec_b64 s[20:21], vcc
	s_cbranch_execz .LBB3_614
; %bb.612:                              ;   in Loop: Header=BB3_547 Depth=1
	s_mov_b64 s[22:23], 0
.LBB3_613:                              ;   Parent Loop BB3_547 Depth=1
                                        ; =>  This Inner Loop Header: Depth=2
	s_sleep 1
	global_store_dwordx2 v[10:11], v[8:9], off
	v_mov_b32_e32 v6, s16
	v_mov_b32_e32 v7, s17
	buffer_wbl2
	s_waitcnt vmcnt(0)
	global_atomic_cmpswap_x2 v[6:7], v27, v[6:9], s[6:7] offset:32 glc
	s_waitcnt vmcnt(0)
	v_cmp_eq_u64_e32 vcc, v[6:7], v[8:9]
	s_or_b64 s[22:23], vcc, s[22:23]
	v_pk_mov_b32 v[8:9], v[6:7], v[6:7] op_sel:[0,1]
	s_andn2_b64 exec, exec, s[22:23]
	s_cbranch_execnz .LBB3_613
.LBB3_614:                              ;   in Loop: Header=BB3_547 Depth=1
	s_or_b64 exec, exec, s[20:21]
	global_load_dwordx2 v[6:7], v27, s[6:7] offset:16
	s_mov_b64 s[22:23], exec
	v_mbcnt_lo_u32_b32 v8, s22, 0
	v_mbcnt_hi_u32_b32 v8, s23, v8
	v_cmp_eq_u32_e32 vcc, 0, v8
	s_and_saveexec_b64 s[20:21], vcc
	s_cbranch_execz .LBB3_616
; %bb.615:                              ;   in Loop: Header=BB3_547 Depth=1
	s_bcnt1_i32_b64 s22, s[22:23]
	v_mov_b32_e32 v26, s22
	buffer_wbl2
	s_waitcnt vmcnt(0)
	global_atomic_add_x2 v[6:7], v[26:27], off offset:8
.LBB3_616:                              ;   in Loop: Header=BB3_547 Depth=1
	s_or_b64 exec, exec, s[20:21]
	s_waitcnt vmcnt(0)
	global_load_dwordx2 v[8:9], v[6:7], off offset:16
	s_waitcnt vmcnt(0)
	v_cmp_eq_u64_e32 vcc, 0, v[8:9]
	s_cbranch_vccnz .LBB3_618
; %bb.617:                              ;   in Loop: Header=BB3_547 Depth=1
	global_load_dword v26, v[6:7], off offset:24
	s_waitcnt vmcnt(0)
	v_and_b32_e32 v6, 0xffffff, v26
	v_readfirstlane_b32 m0, v6
	buffer_wbl2
	global_store_dwordx2 v[8:9], v[26:27], off
	s_sendmsg sendmsg(MSG_INTERRUPT)
.LBB3_618:                              ;   in Loop: Header=BB3_547 Depth=1
	s_or_b64 exec, exec, s[18:19]
	v_add_co_u32_e32 v2, vcc, v2, v30
	v_addc_co_u32_e32 v3, vcc, 0, v3, vcc
	s_branch .LBB3_622
.LBB3_619:                              ;   in Loop: Header=BB3_622 Depth=2
	s_or_b64 exec, exec, s[18:19]
	v_readfirstlane_b32 s18, v6
	s_cmp_eq_u32 s18, 0
	s_cbranch_scc1 .LBB3_621
; %bb.620:                              ;   in Loop: Header=BB3_622 Depth=2
	s_sleep 1
	s_cbranch_execnz .LBB3_622
	s_branch .LBB3_624
.LBB3_621:                              ;   in Loop: Header=BB3_547 Depth=1
	s_branch .LBB3_624
.LBB3_622:                              ;   Parent Loop BB3_547 Depth=1
                                        ; =>  This Inner Loop Header: Depth=2
	v_mov_b32_e32 v6, 1
	s_and_saveexec_b64 s[18:19], s[4:5]
	s_cbranch_execz .LBB3_619
; %bb.623:                              ;   in Loop: Header=BB3_622 Depth=2
	global_load_dword v6, v[28:29], off offset:20 glc
	s_waitcnt vmcnt(0)
	buffer_invl2
	buffer_wbinvl1_vol
	v_and_b32_e32 v6, 1, v6
	s_branch .LBB3_619
.LBB3_624:                              ;   in Loop: Header=BB3_547 Depth=1
	global_load_dwordx4 v[6:9], v[2:3], off
	s_and_saveexec_b64 s[18:19], s[4:5]
	s_cbranch_execz .LBB3_546
; %bb.625:                              ;   in Loop: Header=BB3_547 Depth=1
	global_load_dwordx2 v[2:3], v27, s[6:7] offset:40
	global_load_dwordx2 v[12:13], v27, s[6:7] offset:24 glc
	global_load_dwordx2 v[14:15], v27, s[6:7]
	s_waitcnt vmcnt(3)
	v_mov_b32_e32 v9, s17
	s_waitcnt vmcnt(2)
	v_add_co_u32_e32 v11, vcc, 1, v2
	v_addc_co_u32_e32 v16, vcc, 0, v3, vcc
	v_add_co_u32_e32 v8, vcc, s16, v11
	v_addc_co_u32_e32 v9, vcc, v16, v9, vcc
	v_cmp_eq_u64_e32 vcc, 0, v[8:9]
	v_cndmask_b32_e32 v9, v9, v16, vcc
	v_cndmask_b32_e32 v8, v8, v11, vcc
	v_and_b32_e32 v3, v9, v3
	v_and_b32_e32 v2, v8, v2
	v_mul_lo_u32 v3, v3, 24
	v_mul_hi_u32 v11, v2, 24
	v_mul_lo_u32 v2, v2, 24
	v_add_u32_e32 v3, v11, v3
	s_waitcnt vmcnt(0)
	v_add_co_u32_e32 v2, vcc, v14, v2
	v_addc_co_u32_e32 v3, vcc, v15, v3, vcc
	v_mov_b32_e32 v10, v12
	global_store_dwordx2 v[2:3], v[12:13], off
	v_mov_b32_e32 v11, v13
	buffer_wbl2
	s_waitcnt vmcnt(0)
	global_atomic_cmpswap_x2 v[10:11], v27, v[8:11], s[6:7] offset:24 glc
	s_waitcnt vmcnt(0)
	v_cmp_ne_u64_e32 vcc, v[10:11], v[12:13]
	s_and_b64 exec, exec, vcc
	s_cbranch_execz .LBB3_546
; %bb.626:                              ;   in Loop: Header=BB3_547 Depth=1
	s_mov_b64 s[4:5], 0
.LBB3_627:                              ;   Parent Loop BB3_547 Depth=1
                                        ; =>  This Inner Loop Header: Depth=2
	s_sleep 1
	global_store_dwordx2 v[2:3], v[10:11], off
	buffer_wbl2
	s_waitcnt vmcnt(0)
	global_atomic_cmpswap_x2 v[12:13], v27, v[8:11], s[6:7] offset:24 glc
	s_waitcnt vmcnt(0)
	v_cmp_eq_u64_e32 vcc, v[12:13], v[10:11]
	s_or_b64 s[4:5], vcc, s[4:5]
	v_pk_mov_b32 v[10:11], v[12:13], v[12:13] op_sel:[0,1]
	s_andn2_b64 exec, exec, s[4:5]
	s_cbranch_execnz .LBB3_627
	s_branch .LBB3_546
.LBB3_628:
	s_mov_b64 s[4:5], 0
	s_branch .LBB3_630
.LBB3_629:
	s_mov_b64 s[4:5], -1
.LBB3_630:
	s_and_b64 vcc, exec, s[4:5]
	s_cbranch_vccz .LBB3_657
; %bb.631:
	v_readfirstlane_b32 s4, v31
	v_cmp_eq_u32_e64 s[4:5], s4, v31
	s_waitcnt vmcnt(0)
	v_pk_mov_b32 v[8:9], 0, 0
	s_and_saveexec_b64 s[10:11], s[4:5]
	s_cbranch_execz .LBB3_637
; %bb.632:
	v_mov_b32_e32 v2, 0
	global_load_dwordx2 v[6:7], v2, s[6:7] offset:24 glc
	s_waitcnt vmcnt(0)
	buffer_invl2
	buffer_wbinvl1_vol
	global_load_dwordx2 v[4:5], v2, s[6:7] offset:40
	global_load_dwordx2 v[8:9], v2, s[6:7]
	s_waitcnt vmcnt(1)
	v_and_b32_e32 v3, v4, v6
	v_and_b32_e32 v4, v5, v7
	v_mul_lo_u32 v4, v4, 24
	v_mul_hi_u32 v5, v3, 24
	v_mul_lo_u32 v3, v3, 24
	v_add_u32_e32 v5, v5, v4
	s_waitcnt vmcnt(0)
	v_add_co_u32_e32 v4, vcc, v8, v3
	v_addc_co_u32_e32 v5, vcc, v9, v5, vcc
	global_load_dwordx2 v[4:5], v[4:5], off glc
	s_waitcnt vmcnt(0)
	global_atomic_cmpswap_x2 v[8:9], v2, v[4:7], s[6:7] offset:24 glc
	s_waitcnt vmcnt(0)
	buffer_invl2
	buffer_wbinvl1_vol
	v_cmp_ne_u64_e32 vcc, v[8:9], v[6:7]
	s_and_saveexec_b64 s[12:13], vcc
	s_cbranch_execz .LBB3_636
; %bb.633:
	s_mov_b64 s[14:15], 0
.LBB3_634:                              ; =>This Inner Loop Header: Depth=1
	s_sleep 1
	global_load_dwordx2 v[4:5], v2, s[6:7] offset:40
	global_load_dwordx2 v[10:11], v2, s[6:7]
	v_pk_mov_b32 v[6:7], v[8:9], v[8:9] op_sel:[0,1]
	s_waitcnt vmcnt(1)
	v_and_b32_e32 v4, v4, v6
	v_and_b32_e32 v3, v5, v7
	s_waitcnt vmcnt(0)
	v_mad_u64_u32 v[4:5], s[16:17], v4, 24, v[10:11]
	v_mov_b32_e32 v8, v5
	v_mad_u64_u32 v[8:9], s[16:17], v3, 24, v[8:9]
	v_mov_b32_e32 v5, v8
	global_load_dwordx2 v[4:5], v[4:5], off glc
	s_waitcnt vmcnt(0)
	global_atomic_cmpswap_x2 v[8:9], v2, v[4:7], s[6:7] offset:24 glc
	s_waitcnt vmcnt(0)
	buffer_invl2
	buffer_wbinvl1_vol
	v_cmp_eq_u64_e32 vcc, v[8:9], v[6:7]
	s_or_b64 s[14:15], vcc, s[14:15]
	s_andn2_b64 exec, exec, s[14:15]
	s_cbranch_execnz .LBB3_634
; %bb.635:
	s_or_b64 exec, exec, s[14:15]
.LBB3_636:
	s_or_b64 exec, exec, s[12:13]
.LBB3_637:
	s_or_b64 exec, exec, s[10:11]
	v_mov_b32_e32 v2, 0
	global_load_dwordx2 v[10:11], v2, s[6:7] offset:40
	global_load_dwordx4 v[4:7], v2, s[6:7]
	v_readfirstlane_b32 s10, v8
	v_readfirstlane_b32 s11, v9
	s_mov_b64 s[12:13], exec
	s_waitcnt vmcnt(1)
	v_readfirstlane_b32 s14, v10
	v_readfirstlane_b32 s15, v11
	s_and_b64 s[14:15], s[10:11], s[14:15]
	s_mul_i32 s16, s15, 24
	s_mul_hi_u32 s17, s14, 24
	s_mul_i32 s18, s14, 24
	s_add_i32 s16, s17, s16
	v_mov_b32_e32 v3, s16
	s_waitcnt vmcnt(0)
	v_add_co_u32_e32 v8, vcc, s18, v4
	v_addc_co_u32_e32 v9, vcc, v5, v3, vcc
	s_and_saveexec_b64 s[16:17], s[4:5]
	s_cbranch_execz .LBB3_639
; %bb.638:
	v_pk_mov_b32 v[10:11], s[12:13], s[12:13] op_sel:[0,1]
	v_mov_b32_e32 v12, 2
	v_mov_b32_e32 v13, 1
	global_store_dwordx4 v[8:9], v[10:13], off offset:8
.LBB3_639:
	s_or_b64 exec, exec, s[16:17]
	s_lshl_b64 s[12:13], s[14:15], 12
	v_mov_b32_e32 v3, s13
	v_add_co_u32_e32 v6, vcc, s12, v6
	s_movk_i32 s12, 0xff1d
	v_addc_co_u32_e32 v7, vcc, v7, v3, vcc
	v_and_or_b32 v0, v0, s12, 34
	s_mov_b32 s12, 0
	v_mov_b32_e32 v3, v2
	v_readfirstlane_b32 s16, v6
	v_readfirstlane_b32 s17, v7
	s_mov_b32 s13, s12
	s_mov_b32 s14, s12
	;; [unrolled: 1-line block ×3, first 2 shown]
	s_nop 1
	global_store_dwordx4 v30, v[0:3], s[16:17]
	s_nop 0
	v_pk_mov_b32 v[0:1], s[12:13], s[12:13] op_sel:[0,1]
	v_pk_mov_b32 v[2:3], s[14:15], s[14:15] op_sel:[0,1]
	global_store_dwordx4 v30, v[0:3], s[16:17] offset:16
	global_store_dwordx4 v30, v[0:3], s[16:17] offset:32
	;; [unrolled: 1-line block ×3, first 2 shown]
	s_and_saveexec_b64 s[12:13], s[4:5]
	s_cbranch_execz .LBB3_647
; %bb.640:
	v_mov_b32_e32 v6, 0
	global_load_dwordx2 v[12:13], v6, s[6:7] offset:32 glc
	global_load_dwordx2 v[0:1], v6, s[6:7] offset:40
	v_mov_b32_e32 v10, s10
	v_mov_b32_e32 v11, s11
	s_waitcnt vmcnt(0)
	v_readfirstlane_b32 s14, v0
	v_readfirstlane_b32 s15, v1
	s_and_b64 s[14:15], s[14:15], s[10:11]
	s_mul_i32 s15, s15, 24
	s_mul_hi_u32 s16, s14, 24
	s_mul_i32 s14, s14, 24
	s_add_i32 s15, s16, s15
	v_mov_b32_e32 v0, s15
	v_add_co_u32_e32 v4, vcc, s14, v4
	v_addc_co_u32_e32 v5, vcc, v5, v0, vcc
	global_store_dwordx2 v[4:5], v[12:13], off
	buffer_wbl2
	s_waitcnt vmcnt(0)
	global_atomic_cmpswap_x2 v[2:3], v6, v[10:13], s[6:7] offset:32 glc
	s_waitcnt vmcnt(0)
	v_cmp_ne_u64_e32 vcc, v[2:3], v[12:13]
	s_and_saveexec_b64 s[14:15], vcc
	s_cbranch_execz .LBB3_643
; %bb.641:
	s_mov_b64 s[16:17], 0
.LBB3_642:                              ; =>This Inner Loop Header: Depth=1
	s_sleep 1
	global_store_dwordx2 v[4:5], v[2:3], off
	v_mov_b32_e32 v0, s10
	v_mov_b32_e32 v1, s11
	buffer_wbl2
	s_waitcnt vmcnt(0)
	global_atomic_cmpswap_x2 v[0:1], v6, v[0:3], s[6:7] offset:32 glc
	s_waitcnt vmcnt(0)
	v_cmp_eq_u64_e32 vcc, v[0:1], v[2:3]
	s_or_b64 s[16:17], vcc, s[16:17]
	v_pk_mov_b32 v[2:3], v[0:1], v[0:1] op_sel:[0,1]
	s_andn2_b64 exec, exec, s[16:17]
	s_cbranch_execnz .LBB3_642
.LBB3_643:
	s_or_b64 exec, exec, s[14:15]
	v_mov_b32_e32 v3, 0
	global_load_dwordx2 v[0:1], v3, s[6:7] offset:16
	s_mov_b64 s[14:15], exec
	v_mbcnt_lo_u32_b32 v2, s14, 0
	v_mbcnt_hi_u32_b32 v2, s15, v2
	v_cmp_eq_u32_e32 vcc, 0, v2
	s_and_saveexec_b64 s[16:17], vcc
	s_cbranch_execz .LBB3_645
; %bb.644:
	s_bcnt1_i32_b64 s14, s[14:15]
	v_mov_b32_e32 v2, s14
	buffer_wbl2
	s_waitcnt vmcnt(0)
	global_atomic_add_x2 v[0:1], v[2:3], off offset:8
.LBB3_645:
	s_or_b64 exec, exec, s[16:17]
	s_waitcnt vmcnt(0)
	global_load_dwordx2 v[2:3], v[0:1], off offset:16
	s_waitcnt vmcnt(0)
	v_cmp_eq_u64_e32 vcc, 0, v[2:3]
	s_cbranch_vccnz .LBB3_647
; %bb.646:
	global_load_dword v0, v[0:1], off offset:24
	v_mov_b32_e32 v1, 0
	buffer_wbl2
	s_waitcnt vmcnt(0)
	global_store_dwordx2 v[2:3], v[0:1], off
	v_and_b32_e32 v0, 0xffffff, v0
	v_readfirstlane_b32 m0, v0
	s_sendmsg sendmsg(MSG_INTERRUPT)
.LBB3_647:
	s_or_b64 exec, exec, s[12:13]
	s_branch .LBB3_651
.LBB3_648:                              ;   in Loop: Header=BB3_651 Depth=1
	s_or_b64 exec, exec, s[12:13]
	v_readfirstlane_b32 s12, v0
	s_cmp_eq_u32 s12, 0
	s_cbranch_scc1 .LBB3_650
; %bb.649:                              ;   in Loop: Header=BB3_651 Depth=1
	s_sleep 1
	s_cbranch_execnz .LBB3_651
	s_branch .LBB3_653
.LBB3_650:
	s_branch .LBB3_653
.LBB3_651:                              ; =>This Inner Loop Header: Depth=1
	v_mov_b32_e32 v0, 1
	s_and_saveexec_b64 s[12:13], s[4:5]
	s_cbranch_execz .LBB3_648
; %bb.652:                              ;   in Loop: Header=BB3_651 Depth=1
	global_load_dword v0, v[8:9], off offset:20 glc
	s_waitcnt vmcnt(0)
	buffer_invl2
	buffer_wbinvl1_vol
	v_and_b32_e32 v0, 1, v0
	s_branch .LBB3_648
.LBB3_653:
	s_and_saveexec_b64 s[12:13], s[4:5]
	s_cbranch_execz .LBB3_656
; %bb.654:
	v_mov_b32_e32 v6, 0
	global_load_dwordx2 v[4:5], v6, s[6:7] offset:40
	global_load_dwordx2 v[8:9], v6, s[6:7] offset:24 glc
	global_load_dwordx2 v[10:11], v6, s[6:7]
	v_mov_b32_e32 v1, s11
	s_mov_b64 s[4:5], 0
	s_waitcnt vmcnt(2)
	v_add_co_u32_e32 v3, vcc, 1, v4
	v_addc_co_u32_e32 v7, vcc, 0, v5, vcc
	v_add_co_u32_e32 v0, vcc, s10, v3
	v_addc_co_u32_e32 v1, vcc, v7, v1, vcc
	v_cmp_eq_u64_e32 vcc, 0, v[0:1]
	v_cndmask_b32_e32 v1, v1, v7, vcc
	v_cndmask_b32_e32 v0, v0, v3, vcc
	v_and_b32_e32 v3, v1, v5
	v_and_b32_e32 v4, v0, v4
	v_mul_lo_u32 v3, v3, 24
	v_mul_hi_u32 v5, v4, 24
	v_mul_lo_u32 v4, v4, 24
	v_add_u32_e32 v3, v5, v3
	s_waitcnt vmcnt(0)
	v_add_co_u32_e32 v4, vcc, v10, v4
	v_addc_co_u32_e32 v5, vcc, v11, v3, vcc
	v_mov_b32_e32 v2, v8
	global_store_dwordx2 v[4:5], v[8:9], off
	v_mov_b32_e32 v3, v9
	buffer_wbl2
	s_waitcnt vmcnt(0)
	global_atomic_cmpswap_x2 v[2:3], v6, v[0:3], s[6:7] offset:24 glc
	s_waitcnt vmcnt(0)
	v_cmp_ne_u64_e32 vcc, v[2:3], v[8:9]
	s_and_b64 exec, exec, vcc
	s_cbranch_execz .LBB3_656
.LBB3_655:                              ; =>This Inner Loop Header: Depth=1
	s_sleep 1
	global_store_dwordx2 v[4:5], v[2:3], off
	buffer_wbl2
	s_waitcnt vmcnt(0)
	global_atomic_cmpswap_x2 v[8:9], v6, v[0:3], s[6:7] offset:24 glc
	s_waitcnt vmcnt(0)
	v_cmp_eq_u64_e32 vcc, v[8:9], v[2:3]
	s_or_b64 s[4:5], vcc, s[4:5]
	v_pk_mov_b32 v[2:3], v[8:9], v[8:9] op_sel:[0,1]
	s_andn2_b64 exec, exec, s[4:5]
	s_cbranch_execnz .LBB3_655
.LBB3_656:
	s_or_b64 exec, exec, s[12:13]
.LBB3_657:
	s_getpc_b64 s[4:5]
	s_add_u32 s4, s4, .str.29@rel32@lo+4
	s_addc_u32 s5, s5, .str.29@rel32@hi+12
	s_getpc_b64 s[6:7]
	s_add_u32 s6, s6, .str.19@rel32@lo+4
	s_addc_u32 s7, s7, .str.19@rel32@hi+12
	s_getpc_b64 s[10:11]
	s_add_u32 s10, s10, __PRETTY_FUNCTION__._ZN7VecsMemIjLi8192EE5fetchEi@rel32@lo+4
	s_addc_u32 s11, s11, __PRETTY_FUNCTION__._ZN7VecsMemIjLi8192EE5fetchEi@rel32@hi+12
	s_waitcnt vmcnt(0)
	v_mov_b32_e32 v0, s4
	v_mov_b32_e32 v1, s5
	;; [unrolled: 1-line block ×7, first 2 shown]
	s_getpc_b64 s[12:13]
	s_add_u32 s12, s12, __assert_fail@rel32@lo+4
	s_addc_u32 s13, s13, __assert_fail@rel32@hi+12
	s_mov_b64 s[26:27], s[8:9]
	s_swappc_b64 s[30:31], s[12:13]
	s_mov_b64 s[8:9], s[26:27]
	s_or_b64 s[4:5], s[34:35], exec
.LBB3_658:
	s_or_b64 exec, exec, s[40:41]
	s_andn2_b64 s[6:7], s[34:35], exec
	s_and_b64 s[4:5], s[4:5], exec
	s_or_b64 s[34:35], s[6:7], s[4:5]
	s_andn2_b64 s[4:5], s[28:29], exec
	s_and_b64 s[6:7], s[38:39], exec
	s_or_b64 s[28:29], s[4:5], s[6:7]
.LBB3_659:
	s_or_b64 exec, exec, s[36:37]
	s_andn2_b64 s[4:5], s[86:87], exec
	s_and_b64 s[6:7], s[34:35], exec
	s_or_b64 s[4:5], s[4:5], s[6:7]
	s_and_b64 s[6:7], s[28:29], exec
                                        ; implicit-def: $vgpr58_vgpr59
                                        ; implicit-def: $vgpr42
.LBB3_660:
	s_andn2_saveexec_b64 s[10:11], s[52:53]
	s_cbranch_execz .LBB3_670
; %bb.661:
	v_mov_b32_e32 v0, 0
	v_mov_b32_e32 v1, v0
	;; [unrolled: 1-line block ×4, first 2 shown]
	v_cmp_lt_i32_e32 vcc, 0, v42
	flat_store_dwordx4 v[58:59], v[0:3]
	s_and_saveexec_b64 s[12:13], vcc
	s_cbranch_execz .LBB3_669
; %bb.662:
	v_cmp_ne_u32_e32 vcc, 1, v42
	s_and_saveexec_b64 s[14:15], vcc
	s_xor_b64 s[14:15], exec, s[14:15]
	s_cbranch_execz .LBB3_666
; %bb.663:
	v_accvgpr_read_b32 v0, a32
	v_accvgpr_read_b32 v1, a33
	v_add_co_u32_e32 v5, vcc, -4, v0
	v_addc_co_u32_e32 v6, vcc, -1, v1, vcc
	v_mov_b32_e32 v1, 0
	v_and_b32_e32 v4, 0x7ffffffe, v42
	v_add_u32_e32 v0, -1, v42
	s_mov_b64 s[16:17], 0
	v_mov_b32_e32 v2, v1
	v_mov_b32_e32 v3, v1
.LBB3_664:                              ; =>This Inner Loop Header: Depth=1
	v_lshlrev_b64 v[8:9], 2, v[0:1]
	v_add_co_u32_e32 v8, vcc, v5, v8
	v_add_u32_e32 v4, -2, v4
	v_addc_co_u32_e32 v9, vcc, v6, v9, vcc
	v_cmp_eq_u32_e32 vcc, 0, v4
	v_add_u32_e32 v0, -2, v0
	s_or_b64 s[16:17], vcc, s[16:17]
	flat_store_dwordx2 v[8:9], v[2:3]
	s_andn2_b64 exec, exec, s[16:17]
	s_cbranch_execnz .LBB3_664
; %bb.665:
	s_or_b64 exec, exec, s[16:17]
.LBB3_666:
	s_andn2_saveexec_b64 s[14:15], s[14:15]
	s_cbranch_execz .LBB3_669
; %bb.667:
	v_accvgpr_read_b32 v0, a32
	s_mov_b32 s14, 2
	v_mov_b32_e32 v2, 0
	v_accvgpr_read_b32 v1, a33
.LBB3_668:                              ; =>This Inner Loop Header: Depth=1
	flat_store_dword v[0:1], v2
	s_add_i32 s14, s14, -1
	v_add_co_u32_e32 v0, vcc, -4, v0
	s_cmp_lt_u32 s14, 2
	v_addc_co_u32_e32 v1, vcc, 3, v1, vcc
	s_cbranch_scc0 .LBB3_668
.LBB3_669:
	s_or_b64 exec, exec, s[12:13]
	s_or_b64 s[6:7], s[6:7], exec
.LBB3_670:
	s_or_b64 exec, exec, s[10:11]
	s_mov_b64 s[10:11], exec
	v_accvgpr_read_b32 v0, a32
	s_and_b64 s[12:13], s[10:11], s[6:7]
	v_accvgpr_read_b32 v1, a33
	s_xor_b64 s[6:7], s[12:13], s[10:11]
	s_mov_b64 exec, s[12:13]
	s_or_b64 exec, exec, s[6:7]
	s_andn2_b64 s[6:7], s[86:87], exec
	s_and_b64 s[4:5], s[4:5], exec
	s_or_b64 s[26:27], s[6:7], s[4:5]
.LBB3_671:
	s_andn2_saveexec_b64 s[28:29], s[54:55]
	s_cbranch_execz .LBB3_673
; %bb.672:
	s_getpc_b64 s[4:5]
	s_add_u32 s4, s4, .str.17@rel32@lo+4
	s_addc_u32 s5, s5, .str.17@rel32@hi+12
	s_getpc_b64 s[6:7]
	s_add_u32 s6, s6, .str.16@rel32@lo+4
	s_addc_u32 s7, s7, .str.16@rel32@hi+12
	s_getpc_b64 s[10:11]
	s_add_u32 s10, s10, __PRETTY_FUNCTION__._ZN3sop13minatoIsopRecEPKjS1_iPNS_3SopEP7VecsMemIjLi8192EE@rel32@lo+4
	s_addc_u32 s11, s11, __PRETTY_FUNCTION__._ZN3sop13minatoIsopRecEPKjS1_iPNS_3SopEP7VecsMemIjLi8192EE@rel32@hi+12
	v_mov_b32_e32 v0, s4
	v_mov_b32_e32 v1, s5
	;; [unrolled: 1-line block ×7, first 2 shown]
	s_getpc_b64 s[12:13]
	s_add_u32 s12, s12, __assert_fail@rel32@lo+4
	s_addc_u32 s13, s13, __assert_fail@rel32@hi+12
	s_swappc_b64 s[30:31], s[12:13]
	s_or_b64 s[26:27], s[26:27], exec
                                        ; implicit-def: $vgpr0_vgpr1
.LBB3_673:
	s_or_b64 exec, exec, s[28:29]
	s_andn2_b64 s[4:5], s[86:87], exec
	s_and_b64 s[6:7], s[26:27], exec
	s_or_b64 s[86:87], s[4:5], s[6:7]
	s_or_b64 exec, exec, s[88:89]
	s_and_saveexec_b64 s[4:5], s[86:87]
	s_cbranch_execnz .LBB3_3
	s_branch .LBB3_4
.Lfunc_end3:
	.size	_ZN3sop13minatoIsopRecEPKjS1_iPNS_3SopEP7VecsMemIjLi8192EE, .Lfunc_end3-_ZN3sop13minatoIsopRecEPKjS1_iPNS_3SopEP7VecsMemIjLi8192EE
                                        ; -- End function
	.section	.AMDGPU.csdata,"",@progbits
; Function info:
; codeLenInByte = 25352
; NumSgprs: 104
; NumVgprs: 64
; NumAgprs: 40
; TotalNumVgprs: 104
; ScratchSize: 336
; MemoryBound: 0
	.text
	.p2align	2                               ; -- Begin function _ZN3sop23sopFactorTrivialCubeRecEjiiPN8subgUtil4SubgILi256EEE
	.type	_ZN3sop23sopFactorTrivialCubeRecEjiiPN8subgUtil4SubgILi256EEE,@function
_ZN3sop23sopFactorTrivialCubeRecEjiiPN8subgUtil4SubgILi256EEE: ; @_ZN3sop23sopFactorTrivialCubeRecEjiiPN8subgUtil4SubgILi256EEE
; %bb.0:
	s_waitcnt vmcnt(0) expcnt(0) lgkmcnt(0)
	s_mov_b32 s4, s33
	s_mov_b32 s33, s32
	s_or_saveexec_b64 s[6:7], -1
	buffer_store_dword v46, off, s[0:3], s33 offset:24 ; 4-byte Folded Spill
	s_mov_b64 exec, s[6:7]
	v_writelane_b32 v46, s4, 14
	s_addk_i32 s32, 0x800
	buffer_store_dword v40, off, s[0:3], s33 offset:20 ; 4-byte Folded Spill
	buffer_store_dword v41, off, s[0:3], s33 offset:16 ; 4-byte Folded Spill
	;; [unrolled: 1-line block ×5, first 2 shown]
	buffer_store_dword v45, off, s[0:3], s33 ; 4-byte Folded Spill
	v_writelane_b32 v46, s34, 0
	v_writelane_b32 v46, s35, 1
	;; [unrolled: 1-line block ×14, first 2 shown]
	v_mov_b32_e32 v45, v4
	v_mov_b32_e32 v44, v3
	v_cmp_ne_u32_e32 vcc, 0, v0
	s_mov_b64 s[26:27], 0
                                        ; implicit-def: $vgpr3
	s_and_saveexec_b64 s[4:5], vcc
	s_xor_b64 s[38:39], exec, s[4:5]
	s_cbranch_execnz .LBB4_5
; %bb.1:
	s_andn2_saveexec_b64 s[28:29], s[38:39]
	s_cbranch_execnz .LBB4_34
.LBB4_2:
	s_or_b64 exec, exec, s[28:29]
	s_and_saveexec_b64 s[4:5], s[26:27]
.LBB4_3:
	; divergent unreachable
.LBB4_4:
	s_or_b64 exec, exec, s[4:5]
	buffer_load_dword v45, off, s[0:3], s33 ; 4-byte Folded Reload
	buffer_load_dword v44, off, s[0:3], s33 offset:4 ; 4-byte Folded Reload
	buffer_load_dword v43, off, s[0:3], s33 offset:8 ; 4-byte Folded Reload
	buffer_load_dword v42, off, s[0:3], s33 offset:12 ; 4-byte Folded Reload
	buffer_load_dword v41, off, s[0:3], s33 offset:16 ; 4-byte Folded Reload
	buffer_load_dword v40, off, s[0:3], s33 offset:20 ; 4-byte Folded Reload
	v_readlane_b32 s30, v46, 12
	v_mov_b32_e32 v0, v3
	v_readlane_b32 s31, v46, 13
	v_readlane_b32 s45, v46, 11
	;; [unrolled: 1-line block ×14, first 2 shown]
	s_or_saveexec_b64 s[6:7], -1
	buffer_load_dword v46, off, s[0:3], s33 offset:24 ; 4-byte Folded Reload
	s_mov_b64 exec, s[6:7]
	s_addk_i32 s32, 0xf800
	s_mov_b32 s33, s4
	s_waitcnt vmcnt(0) lgkmcnt(0)
	s_setpc_b64 s[30:31]
.LBB4_5:
	v_cmp_lt_i32_e32 vcc, v1, v2
	v_mov_b32_e32 v4, 0
	v_mov_b32_e32 v3, -1
	s_and_saveexec_b64 s[6:7], vcc
	s_cbranch_execz .LBB4_9
; %bb.6:
	s_mov_b64 s[10:11], 0
	v_mov_b32_e32 v4, 0
	v_mov_b32_e32 v3, -1
	v_mov_b32_e32 v5, v1
.LBB4_7:                                ; =>This Inner Loop Header: Depth=1
	v_lshrrev_b32_e32 v6, v5, v0
	v_and_b32_e32 v6, 1, v6
	v_cmp_eq_u32_e64 s[4:5], 1, v6
	v_bfe_u32 v7, v0, v5, 1
	v_cndmask_b32_e64 v3, v3, v5, s[4:5]
	v_add_u32_e32 v5, 1, v5
	v_cmp_ge_i32_e64 s[4:5], v5, v2
	s_or_b64 s[10:11], s[4:5], s[10:11]
	v_add_u32_e32 v4, v4, v7
	s_andn2_b64 exec, exec, s[10:11]
	s_cbranch_execnz .LBB4_7
; %bb.8:
	s_or_b64 exec, exec, s[10:11]
.LBB4_9:
	s_or_b64 exec, exec, s[6:7]
	v_cmp_ne_u32_e64 s[4:5], -1, v3
	s_mov_b64 s[28:29], 0
	s_and_saveexec_b64 s[6:7], s[4:5]
	s_xor_b64 s[40:41], exec, s[6:7]
	s_cbranch_execz .LBB4_31
; %bb.10:
	v_cmp_ne_u32_e64 s[4:5], 1, v4
	s_mov_b64 s[6:7], 0
	s_and_saveexec_b64 s[42:43], s[4:5]
	s_cbranch_execz .LBB4_30
; %bb.11:
	v_mov_b32_e32 v40, v1
	s_and_saveexec_b64 s[4:5], vcc
	s_cbranch_execz .LBB4_21
; %bb.12:
	v_lshrrev_b32_e32 v3, 31, v4
	v_add_u32_e32 v3, v4, v3
	v_ashrrev_i32_e32 v3, 1, v3
	v_mov_b32_e32 v4, 0
	v_mov_b32_e32 v5, v1
	s_branch .LBB4_14
.LBB4_13:                               ;   in Loop: Header=BB4_14 Depth=1
	s_or_b64 exec, exec, s[12:13]
	s_and_b64 s[10:11], exec, s[10:11]
	s_or_b64 s[6:7], s[10:11], s[6:7]
	s_andn2_b64 exec, exec, s[6:7]
	s_cbranch_execz .LBB4_20
.LBB4_14:                               ; =>This Inner Loop Header: Depth=1
	v_lshrrev_b32_e32 v6, v5, v0
	v_and_b32_e32 v6, 1, v6
	v_cmp_eq_u32_e32 vcc, 1, v6
	s_mov_b64 s[10:11], -1
	s_mov_b64 s[14:15], -1
                                        ; implicit-def: $vgpr40
	s_and_saveexec_b64 s[12:13], vcc
	s_cbranch_execz .LBB4_18
; %bb.15:                               ;   in Loop: Header=BB4_14 Depth=1
	v_cmp_ne_u32_e32 vcc, v4, v3
	s_mov_b64 s[14:15], 0
	s_and_saveexec_b64 s[16:17], vcc
; %bb.16:                               ;   in Loop: Header=BB4_14 Depth=1
	s_mov_b64 s[14:15], exec
	v_add_u32_e32 v4, 1, v4
; %bb.17:                               ;   in Loop: Header=BB4_14 Depth=1
	s_or_b64 exec, exec, s[16:17]
	s_orn2_b64 s[14:15], s[14:15], exec
	v_mov_b32_e32 v40, v5
.LBB4_18:                               ;   in Loop: Header=BB4_14 Depth=1
	s_or_b64 exec, exec, s[12:13]
	s_and_saveexec_b64 s[12:13], s[14:15]
	s_cbranch_execz .LBB4_13
; %bb.19:                               ;   in Loop: Header=BB4_14 Depth=1
	v_add_u32_e32 v5, 1, v5
	v_cmp_ge_i32_e32 vcc, v5, v2
	s_orn2_b64 s[10:11], vcc, exec
	v_mov_b32_e32 v40, v2
	s_branch .LBB4_13
.LBB4_20:
	s_or_b64 exec, exec, s[6:7]
.LBB4_21:
	s_or_b64 exec, exec, s[4:5]
	v_mov_b32_e32 v42, v2
	v_mov_b32_e32 v2, v40
	;; [unrolled: 1-line block ×4, first 2 shown]
	s_getpc_b64 s[44:45]
	s_add_u32 s44, s44, _ZN3sop23sopFactorTrivialCubeRecEjiiPN8subgUtil4SubgILi256EEE@rel32@lo+4
	s_addc_u32 s45, s45, _ZN3sop23sopFactorTrivialCubeRecEjiiPN8subgUtil4SubgILi256EEE@rel32@hi+12
	s_mov_b64 s[36:37], s[8:9]
	v_mov_b32_e32 v43, v0
	s_swappc_b64 s[30:31], s[44:45]
	v_mov_b32_e32 v41, v0
	s_mov_b64 s[8:9], s[36:37]
	v_mov_b32_e32 v0, v43
	v_mov_b32_e32 v1, v40
	v_mov_b32_e32 v2, v42
	v_mov_b32_e32 v3, v44
	v_mov_b32_e32 v4, v45
	s_mov_b64 s[34:35], s[36:37]
	s_swappc_b64 s[30:31], s[44:45]
	flat_load_dword v2, v[44:45]
	s_movk_i32 s4, 0xff
	s_mov_b64 s[26:27], 0
	s_waitcnt vmcnt(0) lgkmcnt(0)
	v_cmp_lt_i32_e32 vcc, s4, v2
	s_and_saveexec_b64 s[4:5], vcc
	s_xor_b64 s[28:29], exec, s[4:5]
	s_cbranch_execz .LBB4_23
; %bb.22:
	s_getpc_b64 s[4:5]
	s_add_u32 s4, s4, .str.43@rel32@lo+4
	s_addc_u32 s5, s5, .str.43@rel32@hi+12
	s_getpc_b64 s[6:7]
	s_add_u32 s6, s6, .str.44@rel32@lo+4
	s_addc_u32 s7, s7, .str.44@rel32@hi+12
	s_getpc_b64 s[10:11]
	s_add_u32 s10, s10, __PRETTY_FUNCTION__._ZN8subgUtil4SubgILi256EE10addNodeAndEii@rel32@lo+4
	s_addc_u32 s11, s11, __PRETTY_FUNCTION__._ZN8subgUtil4SubgILi256EE10addNodeAndEii@rel32@hi+12
	s_mov_b64 s[8:9], s[34:35]
	v_mov_b32_e32 v0, s4
	v_mov_b32_e32 v1, s5
	;; [unrolled: 1-line block ×7, first 2 shown]
	s_getpc_b64 s[12:13]
	s_add_u32 s12, s12, __assert_fail@rel32@lo+4
	s_addc_u32 s13, s13, __assert_fail@rel32@hi+12
	s_swappc_b64 s[30:31], s[12:13]
	s_mov_b64 s[26:27], exec
                                        ; implicit-def: $vgpr0
                                        ; implicit-def: $vgpr41
                                        ; implicit-def: $vgpr2
                                        ; implicit-def: $vgpr44_vgpr45
.LBB4_23:
	s_or_saveexec_b64 s[28:29], s[28:29]
	s_mov_b64 s[8:9], s[34:35]
                                        ; implicit-def: $vgpr3
	s_xor_b64 exec, exec, s[28:29]
	s_cbranch_execz .LBB4_29
; %bb.24:
	v_or_b32_e32 v1, v0, v41
	v_cmp_lt_i32_e32 vcc, -1, v1
                                        ; implicit-def: $vgpr3
	s_and_saveexec_b64 s[4:5], vcc
	s_xor_b64 s[4:5], exec, s[4:5]
	s_cbranch_execz .LBB4_26
; %bb.25:
	v_add_u32_e32 v3, 1, v2
	flat_store_dword v[44:45], v3
	v_ashrrev_i32_e32 v3, 31, v2
	v_lshlrev_b64 v[4:5], 3, v[2:3]
	v_min_i32_e32 v1, v41, v0
	v_max_i32_e32 v0, v41, v0
	v_add_co_u32_e32 v4, vcc, v44, v4
	v_lshlrev_b32_e32 v0, 1, v0
	v_addc_co_u32_e32 v5, vcc, v45, v5, vcc
	flat_store_dwordx2 v[4:5], v[0:1] offset:8
	v_lshlrev_b32_e32 v3, 1, v2
.LBB4_26:
	s_or_saveexec_b64 s[36:37], s[4:5]
	s_mov_b64 s[4:5], s[26:27]
	s_xor_b64 exec, exec, s[36:37]
	s_cbranch_execz .LBB4_28
; %bb.27:
	s_getpc_b64 s[4:5]
	s_add_u32 s4, s4, .str.46@rel32@lo+4
	s_addc_u32 s5, s5, .str.46@rel32@hi+12
	s_getpc_b64 s[6:7]
	s_add_u32 s6, s6, .str.44@rel32@lo+4
	s_addc_u32 s7, s7, .str.44@rel32@hi+12
	s_getpc_b64 s[10:11]
	s_add_u32 s10, s10, __PRETTY_FUNCTION__._ZN8subgUtil18formAndNodeKeyFlagEiii@rel32@lo+4
	s_addc_u32 s11, s11, __PRETTY_FUNCTION__._ZN8subgUtil18formAndNodeKeyFlagEiii@rel32@hi+12
	s_mov_b64 s[8:9], s[34:35]
	v_mov_b32_e32 v0, s4
	v_mov_b32_e32 v1, s5
	;; [unrolled: 1-line block ×7, first 2 shown]
	s_getpc_b64 s[12:13]
	s_add_u32 s12, s12, __assert_fail@rel32@lo+4
	s_addc_u32 s13, s13, __assert_fail@rel32@hi+12
	s_swappc_b64 s[30:31], s[12:13]
	s_mov_b64 s[8:9], s[34:35]
	s_or_b64 s[4:5], s[26:27], exec
                                        ; implicit-def: $vgpr3
.LBB4_28:
	s_or_b64 exec, exec, s[36:37]
	s_andn2_b64 s[6:7], s[26:27], exec
	s_and_b64 s[4:5], s[4:5], exec
	s_or_b64 s[26:27], s[6:7], s[4:5]
.LBB4_29:
	s_or_b64 exec, exec, s[28:29]
	s_and_b64 s[6:7], s[26:27], exec
.LBB4_30:
	s_or_b64 exec, exec, s[42:43]
	s_and_b64 s[28:29], s[6:7], exec
.LBB4_31:
	s_andn2_saveexec_b64 s[34:35], s[40:41]
	s_cbranch_execz .LBB4_33
; %bb.32:
	s_getpc_b64 s[4:5]
	s_add_u32 s4, s4, .str.37@rel32@lo+4
	s_addc_u32 s5, s5, .str.37@rel32@hi+12
	s_getpc_b64 s[6:7]
	s_add_u32 s6, s6, .str.31@rel32@lo+4
	s_addc_u32 s7, s7, .str.31@rel32@hi+12
	s_getpc_b64 s[10:11]
	s_add_u32 s10, s10, __PRETTY_FUNCTION__._ZN3sop23sopFactorTrivialCubeRecEjiiPN8subgUtil4SubgILi256EEE@rel32@lo+4
	s_addc_u32 s11, s11, __PRETTY_FUNCTION__._ZN3sop23sopFactorTrivialCubeRecEjiiPN8subgUtil4SubgILi256EEE@rel32@hi+12
	v_mov_b32_e32 v0, s4
	v_mov_b32_e32 v1, s5
	;; [unrolled: 1-line block ×7, first 2 shown]
	s_getpc_b64 s[12:13]
	s_add_u32 s12, s12, __assert_fail@rel32@lo+4
	s_addc_u32 s13, s13, __assert_fail@rel32@hi+12
	s_mov_b64 s[26:27], s[8:9]
	s_swappc_b64 s[30:31], s[12:13]
	s_mov_b64 s[8:9], s[26:27]
	s_or_b64 s[28:29], s[28:29], exec
                                        ; implicit-def: $vgpr3
.LBB4_33:
	s_or_b64 exec, exec, s[34:35]
	s_and_b64 s[26:27], s[28:29], exec
	s_andn2_saveexec_b64 s[28:29], s[38:39]
	s_cbranch_execz .LBB4_2
.LBB4_34:
	s_getpc_b64 s[4:5]
	s_add_u32 s4, s4, .str.36@rel32@lo+4
	s_addc_u32 s5, s5, .str.36@rel32@hi+12
	s_getpc_b64 s[6:7]
	s_add_u32 s6, s6, .str.31@rel32@lo+4
	s_addc_u32 s7, s7, .str.31@rel32@hi+12
	s_getpc_b64 s[10:11]
	s_add_u32 s10, s10, __PRETTY_FUNCTION__._ZN3sop23sopFactorTrivialCubeRecEjiiPN8subgUtil4SubgILi256EEE@rel32@lo+4
	s_addc_u32 s11, s11, __PRETTY_FUNCTION__._ZN3sop23sopFactorTrivialCubeRecEjiiPN8subgUtil4SubgILi256EEE@rel32@hi+12
	v_mov_b32_e32 v0, s4
	v_mov_b32_e32 v1, s5
	;; [unrolled: 1-line block ×7, first 2 shown]
	s_getpc_b64 s[12:13]
	s_add_u32 s12, s12, __assert_fail@rel32@lo+4
	s_addc_u32 s13, s13, __assert_fail@rel32@hi+12
	s_swappc_b64 s[30:31], s[12:13]
	s_or_b64 s[26:27], s[26:27], exec
                                        ; implicit-def: $vgpr3
	s_or_b64 exec, exec, s[28:29]
	s_and_saveexec_b64 s[4:5], s[26:27]
	s_cbranch_execnz .LBB4_3
	s_branch .LBB4_4
.Lfunc_end4:
	.size	_ZN3sop23sopFactorTrivialCubeRecEjiiPN8subgUtil4SubgILi256EEE, .Lfunc_end4-_ZN3sop23sopFactorTrivialCubeRecEjiiPN8subgUtil4SubgILi256EEE
                                        ; -- End function
	.section	.AMDGPU.csdata,"",@progbits
; Function info:
; codeLenInByte = 1548
; NumSgprs: 50
; NumVgprs: 54
; NumAgprs: 0
; TotalNumVgprs: 54
; ScratchSize: 96
; MemoryBound: 0
	.text
	.p2align	2                               ; -- Begin function _ZN3sop19sopFactorTrivialRecEPjiiPN8subgUtil4SubgILi256EEE
	.type	_ZN3sop19sopFactorTrivialRecEPjiiPN8subgUtil4SubgILi256EEE,@function
_ZN3sop19sopFactorTrivialRecEPjiiPN8subgUtil4SubgILi256EEE: ; @_ZN3sop19sopFactorTrivialRecEPjiiPN8subgUtil4SubgILi256EEE
; %bb.0:
	s_waitcnt vmcnt(0) expcnt(0) lgkmcnt(0)
	s_mov_b32 s4, s33
	s_mov_b32 s33, s32
	s_or_saveexec_b64 s[6:7], -1
	buffer_store_dword v57, off, s[0:3], s33 offset:36 ; 4-byte Folded Spill
	s_mov_b64 exec, s[6:7]
	v_writelane_b32 v57, s4, 16
	s_addk_i32 s32, 0xc00
	buffer_store_dword v40, off, s[0:3], s33 offset:32 ; 4-byte Folded Spill
	buffer_store_dword v41, off, s[0:3], s33 offset:28 ; 4-byte Folded Spill
	;; [unrolled: 1-line block ×8, first 2 shown]
	buffer_store_dword v56, off, s[0:3], s33 ; 4-byte Folded Spill
	v_writelane_b32 v57, s34, 0
	v_writelane_b32 v57, s35, 1
	;; [unrolled: 1-line block ×16, first 2 shown]
	v_mov_b32_e32 v41, v5
	v_mov_b32_e32 v40, v4
	;; [unrolled: 1-line block ×4, first 2 shown]
	s_mov_b64 s[34:35], s[8:9]
	v_cmp_ne_u32_e32 vcc, 1, v2
                                        ; implicit-def: $vgpr1
	s_and_saveexec_b64 s[4:5], vcc
	s_xor_b64 s[36:37], exec, s[4:5]
	s_cbranch_execz .LBB5_6
; %bb.1:
	v_lshrrev_b32_e32 v0, 31, v2
	v_add_u32_e32 v0, v2, v0
	v_ashrrev_i32_e32 v46, 1, v0
	v_sub_u32_e32 v45, v2, v46
	s_mov_b64 s[8:9], s[34:35]
	v_mov_b32_e32 v0, v42
	v_mov_b32_e32 v1, v43
	;; [unrolled: 1-line block ×5, first 2 shown]
	s_getpc_b64 s[38:39]
	s_add_u32 s38, s38, _ZN3sop19sopFactorTrivialRecEPjiiPN8subgUtil4SubgILi256EEE@rel32@lo+4
	s_addc_u32 s39, s39, _ZN3sop19sopFactorTrivialRecEPjiiPN8subgUtil4SubgILi256EEE@rel32@hi+12
	v_mov_b32_e32 v56, v3
	s_swappc_b64 s[30:31], s[38:39]
	v_ashrrev_i32_e32 v47, 31, v46
	v_mov_b32_e32 v44, v0
	v_lshlrev_b64 v[0:1], 2, v[46:47]
	v_add_co_u32_e32 v0, vcc, v42, v0
	v_addc_co_u32_e32 v1, vcc, v43, v1, vcc
	s_mov_b64 s[8:9], s[34:35]
	v_mov_b32_e32 v2, v45
	v_mov_b32_e32 v3, v56
	;; [unrolled: 1-line block ×4, first 2 shown]
	s_swappc_b64 s[30:31], s[38:39]
	flat_load_dword v1, v[40:41]
	s_movk_i32 s4, 0xff
	s_mov_b64 s[26:27], 0
	s_waitcnt vmcnt(0) lgkmcnt(0)
	v_cmp_lt_i32_e32 vcc, s4, v1
	s_and_saveexec_b64 s[4:5], vcc
	s_xor_b64 s[28:29], exec, s[4:5]
	s_cbranch_execnz .LBB5_9
; %bb.2:
	s_or_saveexec_b64 s[28:29], s[28:29]
                                        ; implicit-def: $vgpr1
	s_xor_b64 exec, exec, s[28:29]
	s_cbranch_execnz .LBB5_10
.LBB5_3:
	s_or_b64 exec, exec, s[28:29]
	s_and_saveexec_b64 s[4:5], s[26:27]
.LBB5_4:
	; divergent unreachable
.LBB5_5:
	s_or_b64 exec, exec, s[4:5]
                                        ; implicit-def: $vgpr42_vgpr43
                                        ; implicit-def: $vgpr40
                                        ; implicit-def: $vgpr3
.LBB5_6:
	s_andn2_saveexec_b64 s[46:47], s[36:37]
	s_cbranch_execz .LBB5_8
; %bb.7:
	flat_load_dword v0, v[42:43]
	s_mov_b64 s[8:9], s[34:35]
	v_mov_b32_e32 v1, 0
	v_mov_b32_e32 v2, v3
	;; [unrolled: 1-line block ×4, first 2 shown]
	s_getpc_b64 s[4:5]
	s_add_u32 s4, s4, _ZN3sop23sopFactorTrivialCubeRecEjiiPN8subgUtil4SubgILi256EEE@rel32@lo+4
	s_addc_u32 s5, s5, _ZN3sop23sopFactorTrivialCubeRecEjiiPN8subgUtil4SubgILi256EEE@rel32@hi+12
	s_swappc_b64 s[30:31], s[4:5]
	v_mov_b32_e32 v1, v0
.LBB5_8:
	s_or_b64 exec, exec, s[46:47]
	buffer_load_dword v56, off, s[0:3], s33 ; 4-byte Folded Reload
	buffer_load_dword v47, off, s[0:3], s33 offset:4 ; 4-byte Folded Reload
	buffer_load_dword v46, off, s[0:3], s33 offset:8 ; 4-byte Folded Reload
	;; [unrolled: 1-line block ×8, first 2 shown]
	v_readlane_b32 s30, v57, 14
	v_mov_b32_e32 v0, v1
	v_readlane_b32 s31, v57, 15
	v_readlane_b32 s47, v57, 13
	v_readlane_b32 s46, v57, 12
	v_readlane_b32 s45, v57, 11
	v_readlane_b32 s44, v57, 10
	v_readlane_b32 s43, v57, 9
	v_readlane_b32 s42, v57, 8
	v_readlane_b32 s41, v57, 7
	v_readlane_b32 s40, v57, 6
	v_readlane_b32 s39, v57, 5
	v_readlane_b32 s38, v57, 4
	v_readlane_b32 s37, v57, 3
	v_readlane_b32 s36, v57, 2
	v_readlane_b32 s35, v57, 1
	v_readlane_b32 s34, v57, 0
	v_readlane_b32 s4, v57, 16
	s_or_saveexec_b64 s[6:7], -1
	buffer_load_dword v57, off, s[0:3], s33 offset:36 ; 4-byte Folded Reload
	s_mov_b64 exec, s[6:7]
	s_addk_i32 s32, 0xf400
	s_mov_b32 s33, s4
	s_waitcnt vmcnt(0) lgkmcnt(0)
	s_setpc_b64 s[30:31]
.LBB5_9:
	s_getpc_b64 s[4:5]
	s_add_u32 s4, s4, .str.43@rel32@lo+4
	s_addc_u32 s5, s5, .str.43@rel32@hi+12
	s_getpc_b64 s[6:7]
	s_add_u32 s6, s6, .str.44@rel32@lo+4
	s_addc_u32 s7, s7, .str.44@rel32@hi+12
	s_getpc_b64 s[10:11]
	s_add_u32 s10, s10, __PRETTY_FUNCTION__._ZN8subgUtil4SubgILi256EE9addNodeOrEii@rel32@lo+4
	s_addc_u32 s11, s11, __PRETTY_FUNCTION__._ZN8subgUtil4SubgILi256EE9addNodeOrEii@rel32@hi+12
	s_mov_b64 s[8:9], s[34:35]
	v_mov_b32_e32 v0, s4
	v_mov_b32_e32 v1, s5
	;; [unrolled: 1-line block ×7, first 2 shown]
	s_getpc_b64 s[12:13]
	s_add_u32 s12, s12, __assert_fail@rel32@lo+4
	s_addc_u32 s13, s13, __assert_fail@rel32@hi+12
	s_swappc_b64 s[30:31], s[12:13]
	s_mov_b64 s[26:27], exec
                                        ; implicit-def: $vgpr0
                                        ; implicit-def: $vgpr44
                                        ; implicit-def: $vgpr40_vgpr41
	s_or_saveexec_b64 s[28:29], s[28:29]
                                        ; implicit-def: $vgpr1
	s_xor_b64 exec, exec, s[28:29]
	s_cbranch_execz .LBB5_3
.LBB5_10:
	v_max_i32_e32 v4, v44, v0
	v_min_i32_e32 v49, v44, v0
	v_xor_b32_e32 v35, 1, v49
	v_xor_b32_e32 v34, 1, v4
	v_cmp_gt_i32_e64 s[4:5], v35, v34
	s_and_saveexec_b64 s[8:9], s[4:5]
	s_cbranch_execz .LBB5_198
; %bb.11:
	s_load_dwordx2 s[10:11], s[34:35], 0x50
	v_mbcnt_lo_u32_b32 v1, -1, 0
	v_mbcnt_hi_u32_b32 v5, -1, v1
	v_readfirstlane_b32 s6, v5
	v_cmp_eq_u32_e64 s[6:7], s6, v5
	v_pk_mov_b32 v[2:3], 0, 0
	s_and_saveexec_b64 s[12:13], s[6:7]
	s_cbranch_execz .LBB5_17
; %bb.12:
	v_mov_b32_e32 v1, 0
	s_waitcnt lgkmcnt(0)
	global_load_dwordx2 v[8:9], v1, s[10:11] offset:24 glc
	s_waitcnt vmcnt(0)
	buffer_invl2
	buffer_wbinvl1_vol
	global_load_dwordx2 v[2:3], v1, s[10:11] offset:40
	global_load_dwordx2 v[6:7], v1, s[10:11]
	s_waitcnt vmcnt(1)
	v_and_b32_e32 v2, v2, v8
	v_and_b32_e32 v3, v3, v9
	v_mul_lo_u32 v3, v3, 24
	v_mul_hi_u32 v10, v2, 24
	v_mul_lo_u32 v2, v2, 24
	v_add_u32_e32 v3, v10, v3
	s_waitcnt vmcnt(0)
	v_add_co_u32_e32 v2, vcc, v6, v2
	v_addc_co_u32_e32 v3, vcc, v7, v3, vcc
	global_load_dwordx2 v[6:7], v[2:3], off glc
	s_waitcnt vmcnt(0)
	global_atomic_cmpswap_x2 v[2:3], v1, v[6:9], s[10:11] offset:24 glc
	s_waitcnt vmcnt(0)
	buffer_invl2
	buffer_wbinvl1_vol
	v_cmp_ne_u64_e32 vcc, v[2:3], v[8:9]
	s_and_saveexec_b64 s[14:15], vcc
	s_cbranch_execz .LBB5_16
; %bb.13:
	s_mov_b64 s[16:17], 0
.LBB5_14:                               ; =>This Inner Loop Header: Depth=1
	s_sleep 1
	global_load_dwordx2 v[6:7], v1, s[10:11] offset:40
	global_load_dwordx2 v[10:11], v1, s[10:11]
	v_pk_mov_b32 v[8:9], v[2:3], v[2:3] op_sel:[0,1]
	s_waitcnt vmcnt(1)
	v_and_b32_e32 v2, v6, v8
	s_waitcnt vmcnt(0)
	v_mad_u64_u32 v[2:3], s[18:19], v2, 24, v[10:11]
	v_and_b32_e32 v7, v7, v9
	v_mov_b32_e32 v6, v3
	v_mad_u64_u32 v[6:7], s[18:19], v7, 24, v[6:7]
	v_mov_b32_e32 v3, v6
	global_load_dwordx2 v[6:7], v[2:3], off glc
	s_waitcnt vmcnt(0)
	global_atomic_cmpswap_x2 v[2:3], v1, v[6:9], s[10:11] offset:24 glc
	s_waitcnt vmcnt(0)
	buffer_invl2
	buffer_wbinvl1_vol
	v_cmp_eq_u64_e32 vcc, v[2:3], v[8:9]
	s_or_b64 s[16:17], vcc, s[16:17]
	s_andn2_b64 exec, exec, s[16:17]
	s_cbranch_execnz .LBB5_14
; %bb.15:
	s_or_b64 exec, exec, s[16:17]
.LBB5_16:
	s_or_b64 exec, exec, s[14:15]
.LBB5_17:
	s_or_b64 exec, exec, s[12:13]
	v_mov_b32_e32 v11, 0
	s_waitcnt lgkmcnt(0)
	global_load_dwordx2 v[12:13], v11, s[10:11] offset:40
	global_load_dwordx4 v[6:9], v11, s[10:11]
	v_readfirstlane_b32 s12, v2
	v_readfirstlane_b32 s13, v3
	s_mov_b64 s[14:15], exec
	s_waitcnt vmcnt(1)
	v_readfirstlane_b32 s16, v12
	v_readfirstlane_b32 s17, v13
	s_and_b64 s[16:17], s[12:13], s[16:17]
	s_mul_i32 s18, s17, 24
	s_mul_hi_u32 s19, s16, 24
	s_mul_i32 s20, s16, 24
	s_add_i32 s18, s19, s18
	v_mov_b32_e32 v1, s18
	s_waitcnt vmcnt(0)
	v_add_co_u32_e32 v2, vcc, s20, v6
	v_addc_co_u32_e32 v3, vcc, v7, v1, vcc
	s_and_saveexec_b64 s[18:19], s[6:7]
	s_cbranch_execz .LBB5_19
; %bb.18:
	v_pk_mov_b32 v[12:13], s[14:15], s[14:15] op_sel:[0,1]
	v_mov_b32_e32 v14, 2
	v_mov_b32_e32 v15, 1
	global_store_dwordx4 v[2:3], v[12:15], off offset:8
.LBB5_19:
	s_or_b64 exec, exec, s[18:19]
	s_lshl_b64 s[14:15], s[16:17], 12
	v_mov_b32_e32 v1, s15
	v_add_co_u32_e32 v8, vcc, s14, v8
	v_addc_co_u32_e32 v1, vcc, v9, v1, vcc
	s_mov_b32 s16, 0
	v_lshlrev_b32_e32 v48, 6, v5
	v_mov_b32_e32 v10, 33
	v_mov_b32_e32 v12, v11
	;; [unrolled: 1-line block ×3, first 2 shown]
	v_readfirstlane_b32 s14, v8
	v_readfirstlane_b32 s15, v1
	s_mov_b32 s17, s16
	v_add_co_u32_e32 v14, vcc, v8, v48
	s_mov_b32 s18, s16
	s_mov_b32 s19, s16
	s_nop 0
	global_store_dwordx4 v48, v[10:13], s[14:15]
	v_pk_mov_b32 v[8:9], s[16:17], s[16:17] op_sel:[0,1]
	v_addc_co_u32_e32 v15, vcc, 0, v1, vcc
	v_pk_mov_b32 v[10:11], s[18:19], s[18:19] op_sel:[0,1]
	global_store_dwordx4 v48, v[8:11], s[14:15] offset:16
	global_store_dwordx4 v48, v[8:11], s[14:15] offset:32
	;; [unrolled: 1-line block ×3, first 2 shown]
	s_and_saveexec_b64 s[14:15], s[6:7]
	s_cbranch_execz .LBB5_27
; %bb.20:
	v_mov_b32_e32 v1, 0
	global_load_dwordx2 v[18:19], v1, s[10:11] offset:32 glc
	global_load_dwordx2 v[8:9], v1, s[10:11] offset:40
	v_mov_b32_e32 v16, s12
	v_mov_b32_e32 v17, s13
	s_waitcnt vmcnt(0)
	v_and_b32_e32 v8, s12, v8
	v_and_b32_e32 v9, s13, v9
	v_mul_lo_u32 v9, v9, 24
	v_mul_hi_u32 v10, v8, 24
	v_mul_lo_u32 v8, v8, 24
	v_add_u32_e32 v9, v10, v9
	v_add_co_u32_e32 v10, vcc, v6, v8
	v_addc_co_u32_e32 v11, vcc, v7, v9, vcc
	global_store_dwordx2 v[10:11], v[18:19], off
	buffer_wbl2
	s_waitcnt vmcnt(0)
	global_atomic_cmpswap_x2 v[8:9], v1, v[16:19], s[10:11] offset:32 glc
	s_waitcnt vmcnt(0)
	v_cmp_ne_u64_e32 vcc, v[8:9], v[18:19]
	s_and_saveexec_b64 s[16:17], vcc
	s_cbranch_execz .LBB5_23
; %bb.21:
	s_mov_b64 s[18:19], 0
.LBB5_22:                               ; =>This Inner Loop Header: Depth=1
	s_sleep 1
	global_store_dwordx2 v[10:11], v[8:9], off
	v_mov_b32_e32 v6, s12
	v_mov_b32_e32 v7, s13
	buffer_wbl2
	s_waitcnt vmcnt(0)
	global_atomic_cmpswap_x2 v[6:7], v1, v[6:9], s[10:11] offset:32 glc
	s_waitcnt vmcnt(0)
	v_cmp_eq_u64_e32 vcc, v[6:7], v[8:9]
	s_or_b64 s[18:19], vcc, s[18:19]
	v_pk_mov_b32 v[8:9], v[6:7], v[6:7] op_sel:[0,1]
	s_andn2_b64 exec, exec, s[18:19]
	s_cbranch_execnz .LBB5_22
.LBB5_23:
	s_or_b64 exec, exec, s[16:17]
	v_mov_b32_e32 v9, 0
	global_load_dwordx2 v[6:7], v9, s[10:11] offset:16
	s_mov_b64 s[16:17], exec
	v_mbcnt_lo_u32_b32 v1, s16, 0
	v_mbcnt_hi_u32_b32 v1, s17, v1
	v_cmp_eq_u32_e32 vcc, 0, v1
	s_and_saveexec_b64 s[18:19], vcc
	s_cbranch_execz .LBB5_25
; %bb.24:
	s_bcnt1_i32_b64 s16, s[16:17]
	v_mov_b32_e32 v8, s16
	buffer_wbl2
	s_waitcnt vmcnt(0)
	global_atomic_add_x2 v[6:7], v[8:9], off offset:8
.LBB5_25:
	s_or_b64 exec, exec, s[18:19]
	s_waitcnt vmcnt(0)
	global_load_dwordx2 v[8:9], v[6:7], off offset:16
	s_waitcnt vmcnt(0)
	v_cmp_eq_u64_e32 vcc, 0, v[8:9]
	s_cbranch_vccnz .LBB5_27
; %bb.26:
	global_load_dword v6, v[6:7], off offset:24
	v_mov_b32_e32 v7, 0
	s_waitcnt vmcnt(0)
	v_and_b32_e32 v1, 0xffffff, v6
	v_readfirstlane_b32 m0, v1
	buffer_wbl2
	global_store_dwordx2 v[8:9], v[6:7], off
	s_sendmsg sendmsg(MSG_INTERRUPT)
.LBB5_27:
	s_or_b64 exec, exec, s[14:15]
	s_branch .LBB5_31
.LBB5_28:                               ;   in Loop: Header=BB5_31 Depth=1
	s_or_b64 exec, exec, s[14:15]
	v_readfirstlane_b32 s14, v1
	s_cmp_eq_u32 s14, 0
	s_cbranch_scc1 .LBB5_30
; %bb.29:                               ;   in Loop: Header=BB5_31 Depth=1
	s_sleep 1
	s_cbranch_execnz .LBB5_31
	s_branch .LBB5_33
.LBB5_30:
	s_branch .LBB5_33
.LBB5_31:                               ; =>This Inner Loop Header: Depth=1
	v_mov_b32_e32 v1, 1
	s_and_saveexec_b64 s[14:15], s[6:7]
	s_cbranch_execz .LBB5_28
; %bb.32:                               ;   in Loop: Header=BB5_31 Depth=1
	global_load_dword v1, v[2:3], off offset:20 glc
	s_waitcnt vmcnt(0)
	buffer_invl2
	buffer_wbinvl1_vol
	v_and_b32_e32 v1, 1, v1
	s_branch .LBB5_28
.LBB5_33:
	global_load_dwordx2 v[6:7], v[14:15], off
	s_and_saveexec_b64 s[14:15], s[6:7]
	s_cbranch_execz .LBB5_36
; %bb.34:
	v_mov_b32_e32 v1, 0
	global_load_dwordx2 v[2:3], v1, s[10:11] offset:40
	global_load_dwordx2 v[12:13], v1, s[10:11] offset:24 glc
	global_load_dwordx2 v[14:15], v1, s[10:11]
	v_mov_b32_e32 v9, s13
	s_mov_b64 s[6:7], 0
	s_waitcnt vmcnt(2)
	v_add_co_u32_e32 v11, vcc, 1, v2
	v_addc_co_u32_e32 v16, vcc, 0, v3, vcc
	v_add_co_u32_e32 v8, vcc, s12, v11
	v_addc_co_u32_e32 v9, vcc, v16, v9, vcc
	v_cmp_eq_u64_e32 vcc, 0, v[8:9]
	v_cndmask_b32_e32 v9, v9, v16, vcc
	v_cndmask_b32_e32 v8, v8, v11, vcc
	v_and_b32_e32 v3, v9, v3
	v_and_b32_e32 v2, v8, v2
	v_mul_lo_u32 v3, v3, 24
	v_mul_hi_u32 v11, v2, 24
	v_mul_lo_u32 v2, v2, 24
	v_add_u32_e32 v3, v11, v3
	s_waitcnt vmcnt(0)
	v_add_co_u32_e32 v2, vcc, v14, v2
	v_addc_co_u32_e32 v3, vcc, v15, v3, vcc
	v_mov_b32_e32 v10, v12
	global_store_dwordx2 v[2:3], v[12:13], off
	v_mov_b32_e32 v11, v13
	buffer_wbl2
	s_waitcnt vmcnt(0)
	global_atomic_cmpswap_x2 v[10:11], v1, v[8:11], s[10:11] offset:24 glc
	s_waitcnt vmcnt(0)
	v_cmp_ne_u64_e32 vcc, v[10:11], v[12:13]
	s_and_b64 exec, exec, vcc
	s_cbranch_execz .LBB5_36
.LBB5_35:                               ; =>This Inner Loop Header: Depth=1
	s_sleep 1
	global_store_dwordx2 v[2:3], v[10:11], off
	buffer_wbl2
	s_waitcnt vmcnt(0)
	global_atomic_cmpswap_x2 v[12:13], v1, v[8:11], s[10:11] offset:24 glc
	s_waitcnt vmcnt(0)
	v_cmp_eq_u64_e32 vcc, v[12:13], v[10:11]
	s_or_b64 s[6:7], vcc, s[6:7]
	v_pk_mov_b32 v[10:11], v[12:13], v[12:13] op_sel:[0,1]
	s_andn2_b64 exec, exec, s[6:7]
	s_cbranch_execnz .LBB5_35
.LBB5_36:
	s_or_b64 exec, exec, s[14:15]
	s_getpc_b64 s[12:13]
	s_add_u32 s12, s12, .str.45@rel32@lo+4
	s_addc_u32 s13, s13, .str.45@rel32@hi+12
	s_cmp_lg_u64 s[12:13], 0
	s_cbranch_scc0 .LBB5_121
; %bb.37:
	s_waitcnt vmcnt(0)
	v_and_b32_e32 v2, 2, v6
	v_mov_b32_e32 v37, 0
	v_and_b32_e32 v8, -3, v6
	v_mov_b32_e32 v9, v7
	s_mov_b64 s[14:15], 7
	v_mov_b32_e32 v12, 2
	v_mov_b32_e32 v13, 1
	s_branch .LBB5_39
.LBB5_38:                               ;   in Loop: Header=BB5_39 Depth=1
	s_or_b64 exec, exec, s[20:21]
	s_sub_u32 s14, s14, s16
	s_subb_u32 s15, s15, s17
	s_add_u32 s12, s12, s16
	s_addc_u32 s13, s13, s17
	s_cmp_lg_u64 s[14:15], 0
	s_cbranch_scc0 .LBB5_120
.LBB5_39:                               ; =>This Loop Header: Depth=1
                                        ;     Child Loop BB5_42 Depth 2
                                        ;     Child Loop BB5_49 Depth 2
	;; [unrolled: 1-line block ×11, first 2 shown]
	v_cmp_lt_u64_e64 s[6:7], s[14:15], 56
	s_and_b64 s[6:7], s[6:7], exec
	v_cmp_gt_u64_e64 s[6:7], s[14:15], 7
	s_cselect_b32 s17, s15, 0
	s_cselect_b32 s16, s14, 56
	s_and_b64 vcc, exec, s[6:7]
	s_cbranch_vccnz .LBB5_44
; %bb.40:                               ;   in Loop: Header=BB5_39 Depth=1
	s_mov_b64 s[6:7], 0
	s_cmp_eq_u64 s[14:15], 0
	v_pk_mov_b32 v[16:17], 0, 0
	s_cbranch_scc1 .LBB5_43
; %bb.41:                               ;   in Loop: Header=BB5_39 Depth=1
	s_lshl_b64 s[18:19], s[16:17], 3
	s_mov_b64 s[20:21], 0
	v_pk_mov_b32 v[16:17], 0, 0
	s_mov_b64 s[22:23], s[12:13]
.LBB5_42:                               ;   Parent Loop BB5_39 Depth=1
                                        ; =>  This Inner Loop Header: Depth=2
	global_load_ubyte v1, v37, s[22:23]
	s_waitcnt vmcnt(0)
	v_and_b32_e32 v36, 0xffff, v1
	v_lshlrev_b64 v[10:11], s20, v[36:37]
	s_add_u32 s20, s20, 8
	s_addc_u32 s21, s21, 0
	s_add_u32 s22, s22, 1
	s_addc_u32 s23, s23, 0
	v_or_b32_e32 v16, v10, v16
	s_cmp_lg_u32 s18, s20
	v_or_b32_e32 v17, v11, v17
	s_cbranch_scc1 .LBB5_42
.LBB5_43:                               ;   in Loop: Header=BB5_39 Depth=1
	s_mov_b32 s22, 0
	s_andn2_b64 vcc, exec, s[6:7]
	s_mov_b64 s[6:7], s[12:13]
	s_cbranch_vccz .LBB5_45
	s_branch .LBB5_46
.LBB5_44:                               ;   in Loop: Header=BB5_39 Depth=1
                                        ; implicit-def: $vgpr16_vgpr17
                                        ; implicit-def: $sgpr22
	s_mov_b64 s[6:7], s[12:13]
.LBB5_45:                               ;   in Loop: Header=BB5_39 Depth=1
	global_load_dwordx2 v[16:17], v37, s[12:13]
	s_add_i32 s22, s16, -8
	s_add_u32 s6, s12, 8
	s_addc_u32 s7, s13, 0
.LBB5_46:                               ;   in Loop: Header=BB5_39 Depth=1
	s_cmp_gt_u32 s22, 7
	s_cbranch_scc1 .LBB5_50
; %bb.47:                               ;   in Loop: Header=BB5_39 Depth=1
	s_cmp_eq_u32 s22, 0
	s_cbranch_scc1 .LBB5_51
; %bb.48:                               ;   in Loop: Header=BB5_39 Depth=1
	s_mov_b64 s[18:19], 0
	v_pk_mov_b32 v[18:19], 0, 0
	s_mov_b64 s[20:21], 0
.LBB5_49:                               ;   Parent Loop BB5_39 Depth=1
                                        ; =>  This Inner Loop Header: Depth=2
	s_add_u32 s24, s6, s20
	s_addc_u32 s25, s7, s21
	global_load_ubyte v1, v37, s[24:25]
	s_add_u32 s20, s20, 1
	s_addc_u32 s21, s21, 0
	s_waitcnt vmcnt(0)
	v_and_b32_e32 v36, 0xffff, v1
	v_lshlrev_b64 v[10:11], s18, v[36:37]
	s_add_u32 s18, s18, 8
	s_addc_u32 s19, s19, 0
	v_or_b32_e32 v18, v10, v18
	s_cmp_lg_u32 s22, s20
	v_or_b32_e32 v19, v11, v19
	s_cbranch_scc1 .LBB5_49
	s_branch .LBB5_52
.LBB5_50:                               ;   in Loop: Header=BB5_39 Depth=1
                                        ; implicit-def: $vgpr18_vgpr19
                                        ; implicit-def: $sgpr23
	s_branch .LBB5_53
.LBB5_51:                               ;   in Loop: Header=BB5_39 Depth=1
	v_pk_mov_b32 v[18:19], 0, 0
.LBB5_52:                               ;   in Loop: Header=BB5_39 Depth=1
	s_mov_b32 s23, 0
	s_cbranch_execnz .LBB5_54
.LBB5_53:                               ;   in Loop: Header=BB5_39 Depth=1
	global_load_dwordx2 v[18:19], v37, s[6:7]
	s_add_i32 s23, s22, -8
	s_add_u32 s6, s6, 8
	s_addc_u32 s7, s7, 0
.LBB5_54:                               ;   in Loop: Header=BB5_39 Depth=1
	s_cmp_gt_u32 s23, 7
	s_cbranch_scc1 .LBB5_58
; %bb.55:                               ;   in Loop: Header=BB5_39 Depth=1
	s_cmp_eq_u32 s23, 0
	s_cbranch_scc1 .LBB5_59
; %bb.56:                               ;   in Loop: Header=BB5_39 Depth=1
	s_mov_b64 s[18:19], 0
	v_pk_mov_b32 v[20:21], 0, 0
	s_mov_b64 s[20:21], 0
.LBB5_57:                               ;   Parent Loop BB5_39 Depth=1
                                        ; =>  This Inner Loop Header: Depth=2
	s_add_u32 s24, s6, s20
	s_addc_u32 s25, s7, s21
	global_load_ubyte v1, v37, s[24:25]
	s_add_u32 s20, s20, 1
	s_addc_u32 s21, s21, 0
	s_waitcnt vmcnt(0)
	v_and_b32_e32 v36, 0xffff, v1
	v_lshlrev_b64 v[10:11], s18, v[36:37]
	s_add_u32 s18, s18, 8
	s_addc_u32 s19, s19, 0
	v_or_b32_e32 v20, v10, v20
	s_cmp_lg_u32 s23, s20
	v_or_b32_e32 v21, v11, v21
	s_cbranch_scc1 .LBB5_57
	s_branch .LBB5_60
.LBB5_58:                               ;   in Loop: Header=BB5_39 Depth=1
                                        ; implicit-def: $sgpr22
	s_branch .LBB5_61
.LBB5_59:                               ;   in Loop: Header=BB5_39 Depth=1
	v_pk_mov_b32 v[20:21], 0, 0
.LBB5_60:                               ;   in Loop: Header=BB5_39 Depth=1
	s_mov_b32 s22, 0
	s_cbranch_execnz .LBB5_62
.LBB5_61:                               ;   in Loop: Header=BB5_39 Depth=1
	global_load_dwordx2 v[20:21], v37, s[6:7]
	s_add_i32 s22, s23, -8
	s_add_u32 s6, s6, 8
	s_addc_u32 s7, s7, 0
.LBB5_62:                               ;   in Loop: Header=BB5_39 Depth=1
	s_cmp_gt_u32 s22, 7
	s_cbranch_scc1 .LBB5_66
; %bb.63:                               ;   in Loop: Header=BB5_39 Depth=1
	s_cmp_eq_u32 s22, 0
	s_cbranch_scc1 .LBB5_67
; %bb.64:                               ;   in Loop: Header=BB5_39 Depth=1
	s_mov_b64 s[18:19], 0
	v_pk_mov_b32 v[22:23], 0, 0
	s_mov_b64 s[20:21], 0
.LBB5_65:                               ;   Parent Loop BB5_39 Depth=1
                                        ; =>  This Inner Loop Header: Depth=2
	s_add_u32 s24, s6, s20
	s_addc_u32 s25, s7, s21
	global_load_ubyte v1, v37, s[24:25]
	s_add_u32 s20, s20, 1
	s_addc_u32 s21, s21, 0
	s_waitcnt vmcnt(0)
	v_and_b32_e32 v36, 0xffff, v1
	v_lshlrev_b64 v[10:11], s18, v[36:37]
	s_add_u32 s18, s18, 8
	s_addc_u32 s19, s19, 0
	v_or_b32_e32 v22, v10, v22
	s_cmp_lg_u32 s22, s20
	v_or_b32_e32 v23, v11, v23
	s_cbranch_scc1 .LBB5_65
	s_branch .LBB5_68
.LBB5_66:                               ;   in Loop: Header=BB5_39 Depth=1
                                        ; implicit-def: $vgpr22_vgpr23
                                        ; implicit-def: $sgpr23
	s_branch .LBB5_69
.LBB5_67:                               ;   in Loop: Header=BB5_39 Depth=1
	v_pk_mov_b32 v[22:23], 0, 0
.LBB5_68:                               ;   in Loop: Header=BB5_39 Depth=1
	s_mov_b32 s23, 0
	s_cbranch_execnz .LBB5_70
.LBB5_69:                               ;   in Loop: Header=BB5_39 Depth=1
	global_load_dwordx2 v[22:23], v37, s[6:7]
	s_add_i32 s23, s22, -8
	s_add_u32 s6, s6, 8
	s_addc_u32 s7, s7, 0
.LBB5_70:                               ;   in Loop: Header=BB5_39 Depth=1
	s_cmp_gt_u32 s23, 7
	s_cbranch_scc1 .LBB5_74
; %bb.71:                               ;   in Loop: Header=BB5_39 Depth=1
	s_cmp_eq_u32 s23, 0
	s_cbranch_scc1 .LBB5_75
; %bb.72:                               ;   in Loop: Header=BB5_39 Depth=1
	s_mov_b64 s[18:19], 0
	v_pk_mov_b32 v[24:25], 0, 0
	s_mov_b64 s[20:21], 0
.LBB5_73:                               ;   Parent Loop BB5_39 Depth=1
                                        ; =>  This Inner Loop Header: Depth=2
	s_add_u32 s24, s6, s20
	s_addc_u32 s25, s7, s21
	global_load_ubyte v1, v37, s[24:25]
	s_add_u32 s20, s20, 1
	s_addc_u32 s21, s21, 0
	s_waitcnt vmcnt(0)
	v_and_b32_e32 v36, 0xffff, v1
	v_lshlrev_b64 v[10:11], s18, v[36:37]
	s_add_u32 s18, s18, 8
	s_addc_u32 s19, s19, 0
	v_or_b32_e32 v24, v10, v24
	s_cmp_lg_u32 s23, s20
	v_or_b32_e32 v25, v11, v25
	s_cbranch_scc1 .LBB5_73
	s_branch .LBB5_76
.LBB5_74:                               ;   in Loop: Header=BB5_39 Depth=1
                                        ; implicit-def: $sgpr22
	s_branch .LBB5_77
.LBB5_75:                               ;   in Loop: Header=BB5_39 Depth=1
	v_pk_mov_b32 v[24:25], 0, 0
.LBB5_76:                               ;   in Loop: Header=BB5_39 Depth=1
	s_mov_b32 s22, 0
	s_cbranch_execnz .LBB5_78
.LBB5_77:                               ;   in Loop: Header=BB5_39 Depth=1
	global_load_dwordx2 v[24:25], v37, s[6:7]
	s_add_i32 s22, s23, -8
	s_add_u32 s6, s6, 8
	s_addc_u32 s7, s7, 0
.LBB5_78:                               ;   in Loop: Header=BB5_39 Depth=1
	s_cmp_gt_u32 s22, 7
	s_cbranch_scc1 .LBB5_82
; %bb.79:                               ;   in Loop: Header=BB5_39 Depth=1
	s_cmp_eq_u32 s22, 0
	s_cbranch_scc1 .LBB5_83
; %bb.80:                               ;   in Loop: Header=BB5_39 Depth=1
	s_mov_b64 s[18:19], 0
	v_pk_mov_b32 v[26:27], 0, 0
	s_mov_b64 s[20:21], 0
.LBB5_81:                               ;   Parent Loop BB5_39 Depth=1
                                        ; =>  This Inner Loop Header: Depth=2
	s_add_u32 s24, s6, s20
	s_addc_u32 s25, s7, s21
	global_load_ubyte v1, v37, s[24:25]
	s_add_u32 s20, s20, 1
	s_addc_u32 s21, s21, 0
	s_waitcnt vmcnt(0)
	v_and_b32_e32 v36, 0xffff, v1
	v_lshlrev_b64 v[10:11], s18, v[36:37]
	s_add_u32 s18, s18, 8
	s_addc_u32 s19, s19, 0
	v_or_b32_e32 v26, v10, v26
	s_cmp_lg_u32 s22, s20
	v_or_b32_e32 v27, v11, v27
	s_cbranch_scc1 .LBB5_81
	s_branch .LBB5_84
.LBB5_82:                               ;   in Loop: Header=BB5_39 Depth=1
                                        ; implicit-def: $vgpr26_vgpr27
                                        ; implicit-def: $sgpr23
	s_branch .LBB5_85
.LBB5_83:                               ;   in Loop: Header=BB5_39 Depth=1
	v_pk_mov_b32 v[26:27], 0, 0
.LBB5_84:                               ;   in Loop: Header=BB5_39 Depth=1
	s_mov_b32 s23, 0
	s_cbranch_execnz .LBB5_86
.LBB5_85:                               ;   in Loop: Header=BB5_39 Depth=1
	global_load_dwordx2 v[26:27], v37, s[6:7]
	s_add_i32 s23, s22, -8
	s_add_u32 s6, s6, 8
	s_addc_u32 s7, s7, 0
.LBB5_86:                               ;   in Loop: Header=BB5_39 Depth=1
	s_cmp_gt_u32 s23, 7
	s_cbranch_scc1 .LBB5_90
; %bb.87:                               ;   in Loop: Header=BB5_39 Depth=1
	s_cmp_eq_u32 s23, 0
	s_cbranch_scc1 .LBB5_91
; %bb.88:                               ;   in Loop: Header=BB5_39 Depth=1
	s_mov_b64 s[18:19], 0
	v_pk_mov_b32 v[28:29], 0, 0
	s_mov_b64 s[20:21], s[6:7]
.LBB5_89:                               ;   Parent Loop BB5_39 Depth=1
                                        ; =>  This Inner Loop Header: Depth=2
	global_load_ubyte v1, v37, s[20:21]
	s_add_i32 s23, s23, -1
	s_waitcnt vmcnt(0)
	v_and_b32_e32 v36, 0xffff, v1
	v_lshlrev_b64 v[10:11], s18, v[36:37]
	s_add_u32 s18, s18, 8
	s_addc_u32 s19, s19, 0
	s_add_u32 s20, s20, 1
	s_addc_u32 s21, s21, 0
	v_or_b32_e32 v28, v10, v28
	s_cmp_lg_u32 s23, 0
	v_or_b32_e32 v29, v11, v29
	s_cbranch_scc1 .LBB5_89
	s_branch .LBB5_92
.LBB5_90:                               ;   in Loop: Header=BB5_39 Depth=1
	s_branch .LBB5_93
.LBB5_91:                               ;   in Loop: Header=BB5_39 Depth=1
	v_pk_mov_b32 v[28:29], 0, 0
.LBB5_92:                               ;   in Loop: Header=BB5_39 Depth=1
	s_cbranch_execnz .LBB5_94
.LBB5_93:                               ;   in Loop: Header=BB5_39 Depth=1
	global_load_dwordx2 v[28:29], v37, s[6:7]
.LBB5_94:                               ;   in Loop: Header=BB5_39 Depth=1
	v_readfirstlane_b32 s6, v5
	v_cmp_eq_u32_e64 s[6:7], s6, v5
	s_waitcnt vmcnt(0)
	v_pk_mov_b32 v[10:11], 0, 0
	s_and_saveexec_b64 s[18:19], s[6:7]
	s_cbranch_execz .LBB5_100
; %bb.95:                               ;   in Loop: Header=BB5_39 Depth=1
	global_load_dwordx2 v[32:33], v37, s[10:11] offset:24 glc
	s_waitcnt vmcnt(0)
	buffer_invl2
	buffer_wbinvl1_vol
	global_load_dwordx2 v[10:11], v37, s[10:11] offset:40
	global_load_dwordx2 v[14:15], v37, s[10:11]
	s_waitcnt vmcnt(1)
	v_and_b32_e32 v1, v10, v32
	v_and_b32_e32 v3, v11, v33
	v_mul_lo_u32 v3, v3, 24
	v_mul_hi_u32 v10, v1, 24
	v_mul_lo_u32 v1, v1, 24
	v_add_u32_e32 v3, v10, v3
	s_waitcnt vmcnt(0)
	v_add_co_u32_e32 v10, vcc, v14, v1
	v_addc_co_u32_e32 v11, vcc, v15, v3, vcc
	global_load_dwordx2 v[30:31], v[10:11], off glc
	s_waitcnt vmcnt(0)
	global_atomic_cmpswap_x2 v[10:11], v37, v[30:33], s[10:11] offset:24 glc
	s_waitcnt vmcnt(0)
	buffer_invl2
	buffer_wbinvl1_vol
	v_cmp_ne_u64_e32 vcc, v[10:11], v[32:33]
	s_and_saveexec_b64 s[20:21], vcc
	s_cbranch_execz .LBB5_99
; %bb.96:                               ;   in Loop: Header=BB5_39 Depth=1
	s_mov_b64 s[22:23], 0
.LBB5_97:                               ;   Parent Loop BB5_39 Depth=1
                                        ; =>  This Inner Loop Header: Depth=2
	s_sleep 1
	global_load_dwordx2 v[14:15], v37, s[10:11] offset:40
	global_load_dwordx2 v[30:31], v37, s[10:11]
	v_pk_mov_b32 v[32:33], v[10:11], v[10:11] op_sel:[0,1]
	s_waitcnt vmcnt(1)
	v_and_b32_e32 v3, v14, v32
	s_waitcnt vmcnt(0)
	v_mad_u64_u32 v[10:11], s[24:25], v3, 24, v[30:31]
	v_and_b32_e32 v1, v15, v33
	v_mov_b32_e32 v14, v11
	v_mad_u64_u32 v[14:15], s[24:25], v1, 24, v[14:15]
	v_mov_b32_e32 v11, v14
	global_load_dwordx2 v[30:31], v[10:11], off glc
	s_waitcnt vmcnt(0)
	global_atomic_cmpswap_x2 v[10:11], v37, v[30:33], s[10:11] offset:24 glc
	s_waitcnt vmcnt(0)
	buffer_invl2
	buffer_wbinvl1_vol
	v_cmp_eq_u64_e32 vcc, v[10:11], v[32:33]
	s_or_b64 s[22:23], vcc, s[22:23]
	s_andn2_b64 exec, exec, s[22:23]
	s_cbranch_execnz .LBB5_97
; %bb.98:                               ;   in Loop: Header=BB5_39 Depth=1
	s_or_b64 exec, exec, s[22:23]
.LBB5_99:                               ;   in Loop: Header=BB5_39 Depth=1
	s_or_b64 exec, exec, s[20:21]
.LBB5_100:                              ;   in Loop: Header=BB5_39 Depth=1
	s_or_b64 exec, exec, s[18:19]
	global_load_dwordx2 v[14:15], v37, s[10:11] offset:40
	global_load_dwordx4 v[30:33], v37, s[10:11]
	v_readfirstlane_b32 s18, v10
	v_readfirstlane_b32 s19, v11
	s_mov_b64 s[20:21], exec
	s_waitcnt vmcnt(1)
	v_readfirstlane_b32 s22, v14
	v_readfirstlane_b32 s23, v15
	s_and_b64 s[22:23], s[18:19], s[22:23]
	s_mul_i32 s24, s23, 24
	s_mul_hi_u32 s25, s22, 24
	s_mul_i32 vcc_lo, s22, 24
	s_add_i32 s24, s25, s24
	v_mov_b32_e32 v1, s24
	s_waitcnt vmcnt(0)
	v_add_co_u32_e32 v38, vcc, vcc_lo, v30
	v_addc_co_u32_e32 v39, vcc, v31, v1, vcc
	s_and_saveexec_b64 s[24:25], s[6:7]
	s_cbranch_execz .LBB5_102
; %bb.101:                              ;   in Loop: Header=BB5_39 Depth=1
	v_pk_mov_b32 v[10:11], s[20:21], s[20:21] op_sel:[0,1]
	global_store_dwordx4 v[38:39], v[10:13], off offset:8
.LBB5_102:                              ;   in Loop: Header=BB5_39 Depth=1
	s_or_b64 exec, exec, s[24:25]
	s_lshl_b64 s[20:21], s[22:23], 12
	v_mov_b32_e32 v1, s21
	v_add_co_u32_e32 v32, vcc, s20, v32
	v_addc_co_u32_e32 v1, vcc, v33, v1, vcc
	v_or_b32_e32 v3, 0, v9
	v_or_b32_e32 v10, v8, v2
	v_cmp_gt_u64_e64 vcc, s[14:15], 56
	s_lshl_b32 s20, s16, 2
	v_cndmask_b32_e32 v15, v3, v9, vcc
	v_cndmask_b32_e32 v3, v10, v8, vcc
	s_add_i32 s20, s20, 28
	s_and_b32 s20, s20, 0x1e0
	v_and_b32_e32 v3, 0xffffff1f, v3
	v_or_b32_e32 v14, s20, v3
	v_readfirstlane_b32 s20, v32
	v_readfirstlane_b32 s21, v1
	s_nop 4
	global_store_dwordx4 v48, v[14:17], s[20:21]
	global_store_dwordx4 v48, v[18:21], s[20:21] offset:16
	global_store_dwordx4 v48, v[22:25], s[20:21] offset:32
	;; [unrolled: 1-line block ×3, first 2 shown]
	s_and_saveexec_b64 s[20:21], s[6:7]
	s_cbranch_execz .LBB5_110
; %bb.103:                              ;   in Loop: Header=BB5_39 Depth=1
	global_load_dwordx2 v[18:19], v37, s[10:11] offset:32 glc
	global_load_dwordx2 v[8:9], v37, s[10:11] offset:40
	v_mov_b32_e32 v16, s18
	v_mov_b32_e32 v17, s19
	s_waitcnt vmcnt(0)
	v_readfirstlane_b32 s22, v8
	v_readfirstlane_b32 s23, v9
	s_and_b64 s[22:23], s[22:23], s[18:19]
	s_mul_i32 s23, s23, 24
	s_mul_hi_u32 s24, s22, 24
	s_mul_i32 s22, s22, 24
	s_add_i32 s23, s24, s23
	v_mov_b32_e32 v3, s23
	v_add_co_u32_e32 v14, vcc, s22, v30
	v_addc_co_u32_e32 v15, vcc, v31, v3, vcc
	global_store_dwordx2 v[14:15], v[18:19], off
	buffer_wbl2
	s_waitcnt vmcnt(0)
	global_atomic_cmpswap_x2 v[10:11], v37, v[16:19], s[10:11] offset:32 glc
	s_waitcnt vmcnt(0)
	v_cmp_ne_u64_e32 vcc, v[10:11], v[18:19]
	s_and_saveexec_b64 s[22:23], vcc
	s_cbranch_execz .LBB5_106
; %bb.104:                              ;   in Loop: Header=BB5_39 Depth=1
	s_mov_b64 s[24:25], 0
.LBB5_105:                              ;   Parent Loop BB5_39 Depth=1
                                        ; =>  This Inner Loop Header: Depth=2
	s_sleep 1
	global_store_dwordx2 v[14:15], v[10:11], off
	v_mov_b32_e32 v8, s18
	v_mov_b32_e32 v9, s19
	buffer_wbl2
	s_waitcnt vmcnt(0)
	global_atomic_cmpswap_x2 v[8:9], v37, v[8:11], s[10:11] offset:32 glc
	s_waitcnt vmcnt(0)
	v_cmp_eq_u64_e32 vcc, v[8:9], v[10:11]
	s_or_b64 s[24:25], vcc, s[24:25]
	v_pk_mov_b32 v[10:11], v[8:9], v[8:9] op_sel:[0,1]
	s_andn2_b64 exec, exec, s[24:25]
	s_cbranch_execnz .LBB5_105
.LBB5_106:                              ;   in Loop: Header=BB5_39 Depth=1
	s_or_b64 exec, exec, s[22:23]
	global_load_dwordx2 v[8:9], v37, s[10:11] offset:16
	s_mov_b64 s[24:25], exec
	v_mbcnt_lo_u32_b32 v3, s24, 0
	v_mbcnt_hi_u32_b32 v3, s25, v3
	v_cmp_eq_u32_e32 vcc, 0, v3
	s_and_saveexec_b64 s[22:23], vcc
	s_cbranch_execz .LBB5_108
; %bb.107:                              ;   in Loop: Header=BB5_39 Depth=1
	s_bcnt1_i32_b64 s24, s[24:25]
	v_mov_b32_e32 v36, s24
	buffer_wbl2
	s_waitcnt vmcnt(0)
	global_atomic_add_x2 v[8:9], v[36:37], off offset:8
.LBB5_108:                              ;   in Loop: Header=BB5_39 Depth=1
	s_or_b64 exec, exec, s[22:23]
	s_waitcnt vmcnt(0)
	global_load_dwordx2 v[10:11], v[8:9], off offset:16
	s_waitcnt vmcnt(0)
	v_cmp_eq_u64_e32 vcc, 0, v[10:11]
	s_cbranch_vccnz .LBB5_110
; %bb.109:                              ;   in Loop: Header=BB5_39 Depth=1
	global_load_dword v36, v[8:9], off offset:24
	s_waitcnt vmcnt(0)
	v_and_b32_e32 v3, 0xffffff, v36
	v_readfirstlane_b32 m0, v3
	buffer_wbl2
	global_store_dwordx2 v[10:11], v[36:37], off
	s_sendmsg sendmsg(MSG_INTERRUPT)
.LBB5_110:                              ;   in Loop: Header=BB5_39 Depth=1
	s_or_b64 exec, exec, s[20:21]
	v_add_co_u32_e32 v8, vcc, v32, v48
	v_addc_co_u32_e32 v9, vcc, 0, v1, vcc
	s_branch .LBB5_114
.LBB5_111:                              ;   in Loop: Header=BB5_114 Depth=2
	s_or_b64 exec, exec, s[20:21]
	v_readfirstlane_b32 s20, v1
	s_cmp_eq_u32 s20, 0
	s_cbranch_scc1 .LBB5_113
; %bb.112:                              ;   in Loop: Header=BB5_114 Depth=2
	s_sleep 1
	s_cbranch_execnz .LBB5_114
	s_branch .LBB5_116
.LBB5_113:                              ;   in Loop: Header=BB5_39 Depth=1
	s_branch .LBB5_116
.LBB5_114:                              ;   Parent Loop BB5_39 Depth=1
                                        ; =>  This Inner Loop Header: Depth=2
	v_mov_b32_e32 v1, 1
	s_and_saveexec_b64 s[20:21], s[6:7]
	s_cbranch_execz .LBB5_111
; %bb.115:                              ;   in Loop: Header=BB5_114 Depth=2
	global_load_dword v1, v[38:39], off offset:20 glc
	s_waitcnt vmcnt(0)
	buffer_invl2
	buffer_wbinvl1_vol
	v_and_b32_e32 v1, 1, v1
	s_branch .LBB5_111
.LBB5_116:                              ;   in Loop: Header=BB5_39 Depth=1
	global_load_dwordx4 v[8:11], v[8:9], off
	s_and_saveexec_b64 s[20:21], s[6:7]
	s_cbranch_execz .LBB5_38
; %bb.117:                              ;   in Loop: Header=BB5_39 Depth=1
	global_load_dwordx2 v[10:11], v37, s[10:11] offset:40
	global_load_dwordx2 v[18:19], v37, s[10:11] offset:24 glc
	global_load_dwordx2 v[20:21], v37, s[10:11]
	v_mov_b32_e32 v1, s19
	s_waitcnt vmcnt(2)
	v_add_co_u32_e32 v3, vcc, 1, v10
	v_addc_co_u32_e32 v17, vcc, 0, v11, vcc
	v_add_co_u32_e32 v14, vcc, s18, v3
	v_addc_co_u32_e32 v15, vcc, v17, v1, vcc
	v_cmp_eq_u64_e32 vcc, 0, v[14:15]
	v_cndmask_b32_e32 v15, v15, v17, vcc
	v_cndmask_b32_e32 v14, v14, v3, vcc
	v_and_b32_e32 v1, v15, v11
	v_and_b32_e32 v3, v14, v10
	v_mul_lo_u32 v1, v1, 24
	v_mul_hi_u32 v10, v3, 24
	v_mul_lo_u32 v3, v3, 24
	v_add_u32_e32 v1, v10, v1
	s_waitcnt vmcnt(0)
	v_add_co_u32_e32 v10, vcc, v20, v3
	v_addc_co_u32_e32 v11, vcc, v21, v1, vcc
	v_mov_b32_e32 v16, v18
	global_store_dwordx2 v[10:11], v[18:19], off
	v_mov_b32_e32 v17, v19
	buffer_wbl2
	s_waitcnt vmcnt(0)
	global_atomic_cmpswap_x2 v[16:17], v37, v[14:17], s[10:11] offset:24 glc
	s_waitcnt vmcnt(0)
	v_cmp_ne_u64_e32 vcc, v[16:17], v[18:19]
	s_and_b64 exec, exec, vcc
	s_cbranch_execz .LBB5_38
; %bb.118:                              ;   in Loop: Header=BB5_39 Depth=1
	s_mov_b64 s[6:7], 0
.LBB5_119:                              ;   Parent Loop BB5_39 Depth=1
                                        ; =>  This Inner Loop Header: Depth=2
	s_sleep 1
	global_store_dwordx2 v[10:11], v[16:17], off
	buffer_wbl2
	s_waitcnt vmcnt(0)
	global_atomic_cmpswap_x2 v[18:19], v37, v[14:17], s[10:11] offset:24 glc
	s_waitcnt vmcnt(0)
	v_cmp_eq_u64_e32 vcc, v[18:19], v[16:17]
	s_or_b64 s[6:7], vcc, s[6:7]
	v_pk_mov_b32 v[16:17], v[18:19], v[18:19] op_sel:[0,1]
	s_andn2_b64 exec, exec, s[6:7]
	s_cbranch_execnz .LBB5_119
	s_branch .LBB5_38
.LBB5_120:
	s_branch .LBB5_148
.LBB5_121:
                                        ; implicit-def: $vgpr8_vgpr9
	s_cbranch_execz .LBB5_148
; %bb.122:
	v_readfirstlane_b32 s6, v5
	v_cmp_eq_u32_e64 s[6:7], s6, v5
	v_pk_mov_b32 v[2:3], 0, 0
	s_and_saveexec_b64 s[12:13], s[6:7]
	s_cbranch_execz .LBB5_128
; %bb.123:
	v_mov_b32_e32 v1, 0
	global_load_dwordx2 v[10:11], v1, s[10:11] offset:24 glc
	s_waitcnt vmcnt(0)
	buffer_invl2
	buffer_wbinvl1_vol
	global_load_dwordx2 v[2:3], v1, s[10:11] offset:40
	global_load_dwordx2 v[8:9], v1, s[10:11]
	s_waitcnt vmcnt(1)
	v_and_b32_e32 v2, v2, v10
	v_and_b32_e32 v3, v3, v11
	v_mul_lo_u32 v3, v3, 24
	v_mul_hi_u32 v12, v2, 24
	v_mul_lo_u32 v2, v2, 24
	v_add_u32_e32 v3, v12, v3
	s_waitcnt vmcnt(0)
	v_add_co_u32_e32 v2, vcc, v8, v2
	v_addc_co_u32_e32 v3, vcc, v9, v3, vcc
	global_load_dwordx2 v[8:9], v[2:3], off glc
	s_waitcnt vmcnt(0)
	global_atomic_cmpswap_x2 v[2:3], v1, v[8:11], s[10:11] offset:24 glc
	s_waitcnt vmcnt(0)
	buffer_invl2
	buffer_wbinvl1_vol
	v_cmp_ne_u64_e32 vcc, v[2:3], v[10:11]
	s_and_saveexec_b64 s[14:15], vcc
	s_cbranch_execz .LBB5_127
; %bb.124:
	s_mov_b64 s[16:17], 0
.LBB5_125:                              ; =>This Inner Loop Header: Depth=1
	s_sleep 1
	global_load_dwordx2 v[8:9], v1, s[10:11] offset:40
	global_load_dwordx2 v[12:13], v1, s[10:11]
	v_pk_mov_b32 v[10:11], v[2:3], v[2:3] op_sel:[0,1]
	s_waitcnt vmcnt(1)
	v_and_b32_e32 v2, v8, v10
	s_waitcnt vmcnt(0)
	v_mad_u64_u32 v[2:3], s[18:19], v2, 24, v[12:13]
	v_and_b32_e32 v9, v9, v11
	v_mov_b32_e32 v8, v3
	v_mad_u64_u32 v[8:9], s[18:19], v9, 24, v[8:9]
	v_mov_b32_e32 v3, v8
	global_load_dwordx2 v[8:9], v[2:3], off glc
	s_waitcnt vmcnt(0)
	global_atomic_cmpswap_x2 v[2:3], v1, v[8:11], s[10:11] offset:24 glc
	s_waitcnt vmcnt(0)
	buffer_invl2
	buffer_wbinvl1_vol
	v_cmp_eq_u64_e32 vcc, v[2:3], v[10:11]
	s_or_b64 s[16:17], vcc, s[16:17]
	s_andn2_b64 exec, exec, s[16:17]
	s_cbranch_execnz .LBB5_125
; %bb.126:
	s_or_b64 exec, exec, s[16:17]
.LBB5_127:
	s_or_b64 exec, exec, s[14:15]
.LBB5_128:
	s_or_b64 exec, exec, s[12:13]
	s_waitcnt vmcnt(0)
	v_mov_b32_e32 v8, 0
	global_load_dwordx2 v[14:15], v8, s[10:11] offset:40
	global_load_dwordx4 v[10:13], v8, s[10:11]
	v_readfirstlane_b32 s12, v2
	v_readfirstlane_b32 s13, v3
	s_mov_b64 s[14:15], exec
	s_waitcnt vmcnt(1)
	v_readfirstlane_b32 s16, v14
	v_readfirstlane_b32 s17, v15
	s_and_b64 s[16:17], s[12:13], s[16:17]
	s_mul_i32 s18, s17, 24
	s_mul_hi_u32 s19, s16, 24
	s_mul_i32 s20, s16, 24
	s_add_i32 s18, s19, s18
	v_mov_b32_e32 v1, s18
	s_waitcnt vmcnt(0)
	v_add_co_u32_e32 v2, vcc, s20, v10
	v_addc_co_u32_e32 v3, vcc, v11, v1, vcc
	s_and_saveexec_b64 s[18:19], s[6:7]
	s_cbranch_execz .LBB5_130
; %bb.129:
	v_pk_mov_b32 v[14:15], s[14:15], s[14:15] op_sel:[0,1]
	v_mov_b32_e32 v16, 2
	v_mov_b32_e32 v17, 1
	global_store_dwordx4 v[2:3], v[14:17], off offset:8
.LBB5_130:
	s_or_b64 exec, exec, s[18:19]
	s_lshl_b64 s[14:15], s[16:17], 12
	v_mov_b32_e32 v1, s15
	v_add_co_u32_e32 v14, vcc, s14, v12
	v_addc_co_u32_e32 v1, vcc, v13, v1, vcc
	s_movk_i32 s14, 0xff1f
	s_mov_b32 s16, 0
	v_and_or_b32 v6, v6, s14, 32
	v_mov_b32_e32 v9, v8
	v_readfirstlane_b32 s14, v14
	v_readfirstlane_b32 s15, v1
	s_mov_b32 s17, s16
	v_add_co_u32_e32 v12, vcc, v14, v48
	s_mov_b32 s18, s16
	s_mov_b32 s19, s16
	s_nop 0
	global_store_dwordx4 v48, v[6:9], s[14:15]
	v_addc_co_u32_e32 v13, vcc, 0, v1, vcc
	v_pk_mov_b32 v[6:7], s[16:17], s[16:17] op_sel:[0,1]
	v_pk_mov_b32 v[8:9], s[18:19], s[18:19] op_sel:[0,1]
	global_store_dwordx4 v48, v[6:9], s[14:15] offset:16
	global_store_dwordx4 v48, v[6:9], s[14:15] offset:32
	;; [unrolled: 1-line block ×3, first 2 shown]
	s_and_saveexec_b64 s[14:15], s[6:7]
	s_cbranch_execz .LBB5_138
; %bb.131:
	v_mov_b32_e32 v1, 0
	global_load_dwordx2 v[16:17], v1, s[10:11] offset:32 glc
	global_load_dwordx2 v[6:7], v1, s[10:11] offset:40
	v_mov_b32_e32 v14, s12
	v_mov_b32_e32 v15, s13
	s_waitcnt vmcnt(0)
	v_readfirstlane_b32 s16, v6
	v_readfirstlane_b32 s17, v7
	s_and_b64 s[16:17], s[16:17], s[12:13]
	s_mul_i32 s17, s17, 24
	s_mul_hi_u32 s18, s16, 24
	s_mul_i32 s16, s16, 24
	s_add_i32 s17, s18, s17
	v_mov_b32_e32 v6, s17
	v_add_co_u32_e32 v10, vcc, s16, v10
	v_addc_co_u32_e32 v11, vcc, v11, v6, vcc
	global_store_dwordx2 v[10:11], v[16:17], off
	buffer_wbl2
	s_waitcnt vmcnt(0)
	global_atomic_cmpswap_x2 v[8:9], v1, v[14:17], s[10:11] offset:32 glc
	s_waitcnt vmcnt(0)
	v_cmp_ne_u64_e32 vcc, v[8:9], v[16:17]
	s_and_saveexec_b64 s[16:17], vcc
	s_cbranch_execz .LBB5_134
; %bb.132:
	s_mov_b64 s[18:19], 0
.LBB5_133:                              ; =>This Inner Loop Header: Depth=1
	s_sleep 1
	global_store_dwordx2 v[10:11], v[8:9], off
	v_mov_b32_e32 v6, s12
	v_mov_b32_e32 v7, s13
	buffer_wbl2
	s_waitcnt vmcnt(0)
	global_atomic_cmpswap_x2 v[6:7], v1, v[6:9], s[10:11] offset:32 glc
	s_waitcnt vmcnt(0)
	v_cmp_eq_u64_e32 vcc, v[6:7], v[8:9]
	s_or_b64 s[18:19], vcc, s[18:19]
	v_pk_mov_b32 v[8:9], v[6:7], v[6:7] op_sel:[0,1]
	s_andn2_b64 exec, exec, s[18:19]
	s_cbranch_execnz .LBB5_133
.LBB5_134:
	s_or_b64 exec, exec, s[16:17]
	v_mov_b32_e32 v9, 0
	global_load_dwordx2 v[6:7], v9, s[10:11] offset:16
	s_mov_b64 s[16:17], exec
	v_mbcnt_lo_u32_b32 v1, s16, 0
	v_mbcnt_hi_u32_b32 v1, s17, v1
	v_cmp_eq_u32_e32 vcc, 0, v1
	s_and_saveexec_b64 s[18:19], vcc
	s_cbranch_execz .LBB5_136
; %bb.135:
	s_bcnt1_i32_b64 s16, s[16:17]
	v_mov_b32_e32 v8, s16
	buffer_wbl2
	s_waitcnt vmcnt(0)
	global_atomic_add_x2 v[6:7], v[8:9], off offset:8
.LBB5_136:
	s_or_b64 exec, exec, s[18:19]
	s_waitcnt vmcnt(0)
	global_load_dwordx2 v[8:9], v[6:7], off offset:16
	s_waitcnt vmcnt(0)
	v_cmp_eq_u64_e32 vcc, 0, v[8:9]
	s_cbranch_vccnz .LBB5_138
; %bb.137:
	global_load_dword v6, v[6:7], off offset:24
	v_mov_b32_e32 v7, 0
	s_waitcnt vmcnt(0)
	v_and_b32_e32 v1, 0xffffff, v6
	v_readfirstlane_b32 m0, v1
	buffer_wbl2
	global_store_dwordx2 v[8:9], v[6:7], off
	s_sendmsg sendmsg(MSG_INTERRUPT)
.LBB5_138:
	s_or_b64 exec, exec, s[14:15]
	s_branch .LBB5_142
.LBB5_139:                              ;   in Loop: Header=BB5_142 Depth=1
	s_or_b64 exec, exec, s[14:15]
	v_readfirstlane_b32 s14, v1
	s_cmp_eq_u32 s14, 0
	s_cbranch_scc1 .LBB5_141
; %bb.140:                              ;   in Loop: Header=BB5_142 Depth=1
	s_sleep 1
	s_cbranch_execnz .LBB5_142
	s_branch .LBB5_144
.LBB5_141:
	s_branch .LBB5_144
.LBB5_142:                              ; =>This Inner Loop Header: Depth=1
	v_mov_b32_e32 v1, 1
	s_and_saveexec_b64 s[14:15], s[6:7]
	s_cbranch_execz .LBB5_139
; %bb.143:                              ;   in Loop: Header=BB5_142 Depth=1
	global_load_dword v1, v[2:3], off offset:20 glc
	s_waitcnt vmcnt(0)
	buffer_invl2
	buffer_wbinvl1_vol
	v_and_b32_e32 v1, 1, v1
	s_branch .LBB5_139
.LBB5_144:
	global_load_dwordx2 v[8:9], v[12:13], off
	s_and_saveexec_b64 s[14:15], s[6:7]
	s_cbranch_execz .LBB5_147
; %bb.145:
	v_mov_b32_e32 v1, 0
	global_load_dwordx2 v[2:3], v1, s[10:11] offset:40
	global_load_dwordx2 v[6:7], v1, s[10:11] offset:24 glc
	global_load_dwordx2 v[14:15], v1, s[10:11]
	v_mov_b32_e32 v11, s13
	s_mov_b64 s[6:7], 0
	s_waitcnt vmcnt(2)
	v_add_co_u32_e32 v13, vcc, 1, v2
	v_addc_co_u32_e32 v16, vcc, 0, v3, vcc
	v_add_co_u32_e32 v10, vcc, s12, v13
	v_addc_co_u32_e32 v11, vcc, v16, v11, vcc
	v_cmp_eq_u64_e32 vcc, 0, v[10:11]
	v_cndmask_b32_e32 v11, v11, v16, vcc
	v_cndmask_b32_e32 v10, v10, v13, vcc
	v_and_b32_e32 v3, v11, v3
	v_and_b32_e32 v2, v10, v2
	v_mul_lo_u32 v3, v3, 24
	v_mul_hi_u32 v13, v2, 24
	v_mul_lo_u32 v2, v2, 24
	v_add_u32_e32 v3, v13, v3
	s_waitcnt vmcnt(0)
	v_add_co_u32_e32 v2, vcc, v14, v2
	v_addc_co_u32_e32 v3, vcc, v15, v3, vcc
	v_mov_b32_e32 v12, v6
	global_store_dwordx2 v[2:3], v[6:7], off
	v_mov_b32_e32 v13, v7
	buffer_wbl2
	s_waitcnt vmcnt(0)
	global_atomic_cmpswap_x2 v[12:13], v1, v[10:13], s[10:11] offset:24 glc
	s_waitcnt vmcnt(0)
	v_cmp_ne_u64_e32 vcc, v[12:13], v[6:7]
	s_and_b64 exec, exec, vcc
	s_cbranch_execz .LBB5_147
.LBB5_146:                              ; =>This Inner Loop Header: Depth=1
	s_sleep 1
	global_store_dwordx2 v[2:3], v[12:13], off
	buffer_wbl2
	s_waitcnt vmcnt(0)
	global_atomic_cmpswap_x2 v[6:7], v1, v[10:13], s[10:11] offset:24 glc
	s_waitcnt vmcnt(0)
	v_cmp_eq_u64_e32 vcc, v[6:7], v[12:13]
	s_or_b64 s[6:7], vcc, s[6:7]
	v_pk_mov_b32 v[12:13], v[6:7], v[6:7] op_sel:[0,1]
	s_andn2_b64 exec, exec, s[6:7]
	s_cbranch_execnz .LBB5_146
.LBB5_147:
	s_or_b64 exec, exec, s[14:15]
.LBB5_148:
	v_readfirstlane_b32 s6, v5
	v_cmp_eq_u32_e64 s[6:7], s6, v5
	v_pk_mov_b32 v[2:3], 0, 0
	s_and_saveexec_b64 s[12:13], s[6:7]
	s_cbranch_execz .LBB5_154
; %bb.149:
	v_mov_b32_e32 v1, 0
	global_load_dwordx2 v[12:13], v1, s[10:11] offset:24 glc
	s_waitcnt vmcnt(0)
	buffer_invl2
	buffer_wbinvl1_vol
	global_load_dwordx2 v[2:3], v1, s[10:11] offset:40
	global_load_dwordx2 v[6:7], v1, s[10:11]
	s_waitcnt vmcnt(1)
	v_and_b32_e32 v2, v2, v12
	v_and_b32_e32 v3, v3, v13
	v_mul_lo_u32 v3, v3, 24
	v_mul_hi_u32 v10, v2, 24
	v_mul_lo_u32 v2, v2, 24
	v_add_u32_e32 v3, v10, v3
	s_waitcnt vmcnt(0)
	v_add_co_u32_e32 v2, vcc, v6, v2
	v_addc_co_u32_e32 v3, vcc, v7, v3, vcc
	global_load_dwordx2 v[10:11], v[2:3], off glc
	s_waitcnt vmcnt(0)
	global_atomic_cmpswap_x2 v[2:3], v1, v[10:13], s[10:11] offset:24 glc
	s_waitcnt vmcnt(0)
	buffer_invl2
	buffer_wbinvl1_vol
	v_cmp_ne_u64_e32 vcc, v[2:3], v[12:13]
	s_and_saveexec_b64 s[14:15], vcc
	s_cbranch_execz .LBB5_153
; %bb.150:
	s_mov_b64 s[16:17], 0
.LBB5_151:                              ; =>This Inner Loop Header: Depth=1
	s_sleep 1
	global_load_dwordx2 v[6:7], v1, s[10:11] offset:40
	global_load_dwordx2 v[10:11], v1, s[10:11]
	v_pk_mov_b32 v[12:13], v[2:3], v[2:3] op_sel:[0,1]
	s_waitcnt vmcnt(1)
	v_and_b32_e32 v2, v6, v12
	s_waitcnt vmcnt(0)
	v_mad_u64_u32 v[2:3], s[18:19], v2, 24, v[10:11]
	v_and_b32_e32 v7, v7, v13
	v_mov_b32_e32 v6, v3
	v_mad_u64_u32 v[6:7], s[18:19], v7, 24, v[6:7]
	v_mov_b32_e32 v3, v6
	global_load_dwordx2 v[10:11], v[2:3], off glc
	s_waitcnt vmcnt(0)
	global_atomic_cmpswap_x2 v[2:3], v1, v[10:13], s[10:11] offset:24 glc
	s_waitcnt vmcnt(0)
	buffer_invl2
	buffer_wbinvl1_vol
	v_cmp_eq_u64_e32 vcc, v[2:3], v[12:13]
	s_or_b64 s[16:17], vcc, s[16:17]
	s_andn2_b64 exec, exec, s[16:17]
	s_cbranch_execnz .LBB5_151
; %bb.152:
	s_or_b64 exec, exec, s[16:17]
.LBB5_153:
	s_or_b64 exec, exec, s[14:15]
.LBB5_154:
	s_or_b64 exec, exec, s[12:13]
	s_waitcnt vmcnt(0)
	v_mov_b32_e32 v11, 0
	global_load_dwordx2 v[6:7], v11, s[10:11] offset:40
	global_load_dwordx4 v[12:15], v11, s[10:11]
	v_readfirstlane_b32 s12, v2
	v_readfirstlane_b32 s13, v3
	s_mov_b64 s[14:15], exec
	s_waitcnt vmcnt(1)
	v_readfirstlane_b32 s16, v6
	v_readfirstlane_b32 s17, v7
	s_and_b64 s[16:17], s[12:13], s[16:17]
	s_mul_i32 s18, s17, 24
	s_mul_hi_u32 s19, s16, 24
	s_mul_i32 s20, s16, 24
	s_add_i32 s18, s19, s18
	v_mov_b32_e32 v1, s18
	s_waitcnt vmcnt(0)
	v_add_co_u32_e32 v2, vcc, s20, v12
	v_addc_co_u32_e32 v3, vcc, v13, v1, vcc
	s_and_saveexec_b64 s[18:19], s[6:7]
	s_cbranch_execz .LBB5_156
; %bb.155:
	v_pk_mov_b32 v[16:17], s[14:15], s[14:15] op_sel:[0,1]
	v_mov_b32_e32 v18, 2
	v_mov_b32_e32 v19, 1
	global_store_dwordx4 v[2:3], v[16:19], off offset:8
.LBB5_156:
	s_or_b64 exec, exec, s[18:19]
	s_lshl_b64 s[14:15], s[16:17], 12
	v_mov_b32_e32 v1, s15
	v_add_co_u32_e32 v6, vcc, s14, v14
	v_addc_co_u32_e32 v1, vcc, v15, v1, vcc
	s_mov_b32 s16, 0
	s_movk_i32 s14, 0xff1f
	v_and_or_b32 v8, v8, s14, 32
	v_mov_b32_e32 v10, v49
	v_readfirstlane_b32 s14, v6
	v_readfirstlane_b32 s15, v1
	s_mov_b32 s17, s16
	v_add_co_u32_e32 v14, vcc, v6, v48
	s_mov_b32 s18, s16
	s_mov_b32 s19, s16
	s_nop 0
	global_store_dwordx4 v48, v[8:11], s[14:15]
	v_pk_mov_b32 v[6:7], s[16:17], s[16:17] op_sel:[0,1]
	v_addc_co_u32_e32 v15, vcc, 0, v1, vcc
	v_pk_mov_b32 v[8:9], s[18:19], s[18:19] op_sel:[0,1]
	global_store_dwordx4 v48, v[6:9], s[14:15] offset:16
	global_store_dwordx4 v48, v[6:9], s[14:15] offset:32
	;; [unrolled: 1-line block ×3, first 2 shown]
	s_and_saveexec_b64 s[14:15], s[6:7]
	s_cbranch_execz .LBB5_164
; %bb.157:
	v_mov_b32_e32 v1, 0
	global_load_dwordx2 v[18:19], v1, s[10:11] offset:32 glc
	global_load_dwordx2 v[6:7], v1, s[10:11] offset:40
	v_mov_b32_e32 v16, s12
	v_mov_b32_e32 v17, s13
	s_waitcnt vmcnt(0)
	v_readfirstlane_b32 s16, v6
	v_readfirstlane_b32 s17, v7
	s_and_b64 s[16:17], s[16:17], s[12:13]
	s_mul_i32 s17, s17, 24
	s_mul_hi_u32 s18, s16, 24
	s_mul_i32 s16, s16, 24
	s_add_i32 s17, s18, s17
	v_mov_b32_e32 v6, s17
	v_add_co_u32_e32 v10, vcc, s16, v12
	v_addc_co_u32_e32 v11, vcc, v13, v6, vcc
	global_store_dwordx2 v[10:11], v[18:19], off
	buffer_wbl2
	s_waitcnt vmcnt(0)
	global_atomic_cmpswap_x2 v[8:9], v1, v[16:19], s[10:11] offset:32 glc
	s_waitcnt vmcnt(0)
	v_cmp_ne_u64_e32 vcc, v[8:9], v[18:19]
	s_and_saveexec_b64 s[16:17], vcc
	s_cbranch_execz .LBB5_160
; %bb.158:
	s_mov_b64 s[18:19], 0
.LBB5_159:                              ; =>This Inner Loop Header: Depth=1
	s_sleep 1
	global_store_dwordx2 v[10:11], v[8:9], off
	v_mov_b32_e32 v6, s12
	v_mov_b32_e32 v7, s13
	buffer_wbl2
	s_waitcnt vmcnt(0)
	global_atomic_cmpswap_x2 v[6:7], v1, v[6:9], s[10:11] offset:32 glc
	s_waitcnt vmcnt(0)
	v_cmp_eq_u64_e32 vcc, v[6:7], v[8:9]
	s_or_b64 s[18:19], vcc, s[18:19]
	v_pk_mov_b32 v[8:9], v[6:7], v[6:7] op_sel:[0,1]
	s_andn2_b64 exec, exec, s[18:19]
	s_cbranch_execnz .LBB5_159
.LBB5_160:
	s_or_b64 exec, exec, s[16:17]
	v_mov_b32_e32 v9, 0
	global_load_dwordx2 v[6:7], v9, s[10:11] offset:16
	s_mov_b64 s[16:17], exec
	v_mbcnt_lo_u32_b32 v1, s16, 0
	v_mbcnt_hi_u32_b32 v1, s17, v1
	v_cmp_eq_u32_e32 vcc, 0, v1
	s_and_saveexec_b64 s[18:19], vcc
	s_cbranch_execz .LBB5_162
; %bb.161:
	s_bcnt1_i32_b64 s16, s[16:17]
	v_mov_b32_e32 v8, s16
	buffer_wbl2
	s_waitcnt vmcnt(0)
	global_atomic_add_x2 v[6:7], v[8:9], off offset:8
.LBB5_162:
	s_or_b64 exec, exec, s[18:19]
	s_waitcnt vmcnt(0)
	global_load_dwordx2 v[8:9], v[6:7], off offset:16
	s_waitcnt vmcnt(0)
	v_cmp_eq_u64_e32 vcc, 0, v[8:9]
	s_cbranch_vccnz .LBB5_164
; %bb.163:
	global_load_dword v6, v[6:7], off offset:24
	v_mov_b32_e32 v7, 0
	s_waitcnt vmcnt(0)
	v_and_b32_e32 v1, 0xffffff, v6
	v_readfirstlane_b32 m0, v1
	buffer_wbl2
	global_store_dwordx2 v[8:9], v[6:7], off
	s_sendmsg sendmsg(MSG_INTERRUPT)
.LBB5_164:
	s_or_b64 exec, exec, s[14:15]
	s_branch .LBB5_168
.LBB5_165:                              ;   in Loop: Header=BB5_168 Depth=1
	s_or_b64 exec, exec, s[14:15]
	v_readfirstlane_b32 s14, v1
	s_cmp_eq_u32 s14, 0
	s_cbranch_scc1 .LBB5_167
; %bb.166:                              ;   in Loop: Header=BB5_168 Depth=1
	s_sleep 1
	s_cbranch_execnz .LBB5_168
	s_branch .LBB5_170
.LBB5_167:
	s_branch .LBB5_170
.LBB5_168:                              ; =>This Inner Loop Header: Depth=1
	v_mov_b32_e32 v1, 1
	s_and_saveexec_b64 s[14:15], s[6:7]
	s_cbranch_execz .LBB5_165
; %bb.169:                              ;   in Loop: Header=BB5_168 Depth=1
	global_load_dword v1, v[2:3], off offset:20 glc
	s_waitcnt vmcnt(0)
	buffer_invl2
	buffer_wbinvl1_vol
	v_and_b32_e32 v1, 1, v1
	s_branch .LBB5_165
.LBB5_170:
	global_load_dwordx2 v[2:3], v[14:15], off
	s_and_saveexec_b64 s[14:15], s[6:7]
	s_cbranch_execz .LBB5_173
; %bb.171:
	v_mov_b32_e32 v1, 0
	global_load_dwordx2 v[10:11], v1, s[10:11] offset:40
	global_load_dwordx2 v[12:13], v1, s[10:11] offset:24 glc
	global_load_dwordx2 v[14:15], v1, s[10:11]
	v_mov_b32_e32 v7, s13
	s_mov_b64 s[6:7], 0
	s_waitcnt vmcnt(2)
	v_add_co_u32_e32 v9, vcc, 1, v10
	v_addc_co_u32_e32 v16, vcc, 0, v11, vcc
	v_add_co_u32_e32 v6, vcc, s12, v9
	v_addc_co_u32_e32 v7, vcc, v16, v7, vcc
	v_cmp_eq_u64_e32 vcc, 0, v[6:7]
	v_cndmask_b32_e32 v7, v7, v16, vcc
	v_cndmask_b32_e32 v6, v6, v9, vcc
	v_and_b32_e32 v9, v7, v11
	v_and_b32_e32 v10, v6, v10
	v_mul_lo_u32 v9, v9, 24
	v_mul_hi_u32 v11, v10, 24
	v_mul_lo_u32 v10, v10, 24
	v_add_u32_e32 v9, v11, v9
	s_waitcnt vmcnt(0)
	v_add_co_u32_e32 v10, vcc, v14, v10
	v_addc_co_u32_e32 v11, vcc, v15, v9, vcc
	v_mov_b32_e32 v8, v12
	global_store_dwordx2 v[10:11], v[12:13], off
	v_mov_b32_e32 v9, v13
	buffer_wbl2
	s_waitcnt vmcnt(0)
	global_atomic_cmpswap_x2 v[8:9], v1, v[6:9], s[10:11] offset:24 glc
	s_waitcnt vmcnt(0)
	v_cmp_ne_u64_e32 vcc, v[8:9], v[12:13]
	s_and_b64 exec, exec, vcc
	s_cbranch_execz .LBB5_173
.LBB5_172:                              ; =>This Inner Loop Header: Depth=1
	s_sleep 1
	global_store_dwordx2 v[10:11], v[8:9], off
	buffer_wbl2
	s_waitcnt vmcnt(0)
	global_atomic_cmpswap_x2 v[12:13], v1, v[6:9], s[10:11] offset:24 glc
	s_waitcnt vmcnt(0)
	v_cmp_eq_u64_e32 vcc, v[12:13], v[8:9]
	s_or_b64 s[6:7], vcc, s[6:7]
	v_pk_mov_b32 v[8:9], v[12:13], v[12:13] op_sel:[0,1]
	s_andn2_b64 exec, exec, s[6:7]
	s_cbranch_execnz .LBB5_172
.LBB5_173:
	s_or_b64 exec, exec, s[14:15]
	v_readfirstlane_b32 s6, v5
	v_cmp_eq_u32_e64 s[6:7], s6, v5
	v_pk_mov_b32 v[10:11], 0, 0
	s_and_saveexec_b64 s[12:13], s[6:7]
	s_cbranch_execz .LBB5_179
; %bb.174:
	v_mov_b32_e32 v1, 0
	global_load_dwordx2 v[8:9], v1, s[10:11] offset:24 glc
	s_waitcnt vmcnt(0)
	buffer_invl2
	buffer_wbinvl1_vol
	global_load_dwordx2 v[6:7], v1, s[10:11] offset:40
	global_load_dwordx2 v[10:11], v1, s[10:11]
	s_waitcnt vmcnt(1)
	v_and_b32_e32 v5, v6, v8
	v_and_b32_e32 v6, v7, v9
	v_mul_lo_u32 v6, v6, 24
	v_mul_hi_u32 v7, v5, 24
	v_mul_lo_u32 v5, v5, 24
	v_add_u32_e32 v7, v7, v6
	s_waitcnt vmcnt(0)
	v_add_co_u32_e32 v6, vcc, v10, v5
	v_addc_co_u32_e32 v7, vcc, v11, v7, vcc
	global_load_dwordx2 v[6:7], v[6:7], off glc
	s_waitcnt vmcnt(0)
	global_atomic_cmpswap_x2 v[10:11], v1, v[6:9], s[10:11] offset:24 glc
	s_waitcnt vmcnt(0)
	buffer_invl2
	buffer_wbinvl1_vol
	v_cmp_ne_u64_e32 vcc, v[10:11], v[8:9]
	s_and_saveexec_b64 s[14:15], vcc
	s_cbranch_execz .LBB5_178
; %bb.175:
	s_mov_b64 s[16:17], 0
.LBB5_176:                              ; =>This Inner Loop Header: Depth=1
	s_sleep 1
	global_load_dwordx2 v[6:7], v1, s[10:11] offset:40
	global_load_dwordx2 v[12:13], v1, s[10:11]
	v_pk_mov_b32 v[8:9], v[10:11], v[10:11] op_sel:[0,1]
	s_waitcnt vmcnt(1)
	v_and_b32_e32 v6, v6, v8
	v_and_b32_e32 v5, v7, v9
	s_waitcnt vmcnt(0)
	v_mad_u64_u32 v[6:7], s[18:19], v6, 24, v[12:13]
	v_mov_b32_e32 v10, v7
	v_mad_u64_u32 v[10:11], s[18:19], v5, 24, v[10:11]
	v_mov_b32_e32 v7, v10
	global_load_dwordx2 v[6:7], v[6:7], off glc
	s_waitcnt vmcnt(0)
	global_atomic_cmpswap_x2 v[10:11], v1, v[6:9], s[10:11] offset:24 glc
	s_waitcnt vmcnt(0)
	buffer_invl2
	buffer_wbinvl1_vol
	v_cmp_eq_u64_e32 vcc, v[10:11], v[8:9]
	s_or_b64 s[16:17], vcc, s[16:17]
	s_andn2_b64 exec, exec, s[16:17]
	s_cbranch_execnz .LBB5_176
; %bb.177:
	s_or_b64 exec, exec, s[16:17]
.LBB5_178:
	s_or_b64 exec, exec, s[14:15]
.LBB5_179:
	s_or_b64 exec, exec, s[12:13]
	v_mov_b32_e32 v5, 0
	global_load_dwordx2 v[12:13], v5, s[10:11] offset:40
	global_load_dwordx4 v[6:9], v5, s[10:11]
	v_readfirstlane_b32 s12, v10
	v_readfirstlane_b32 s13, v11
	s_mov_b64 s[14:15], exec
	s_waitcnt vmcnt(1)
	v_readfirstlane_b32 s16, v12
	v_readfirstlane_b32 s17, v13
	s_and_b64 s[16:17], s[12:13], s[16:17]
	s_mul_i32 s18, s17, 24
	s_mul_hi_u32 s19, s16, 24
	s_mul_i32 s20, s16, 24
	s_add_i32 s18, s19, s18
	v_mov_b32_e32 v1, s18
	s_waitcnt vmcnt(0)
	v_add_co_u32_e32 v10, vcc, s20, v6
	v_addc_co_u32_e32 v11, vcc, v7, v1, vcc
	s_and_saveexec_b64 s[18:19], s[6:7]
	s_cbranch_execz .LBB5_181
; %bb.180:
	v_pk_mov_b32 v[12:13], s[14:15], s[14:15] op_sel:[0,1]
	v_mov_b32_e32 v14, 2
	v_mov_b32_e32 v15, 1
	global_store_dwordx4 v[10:11], v[12:15], off offset:8
.LBB5_181:
	s_or_b64 exec, exec, s[18:19]
	s_lshl_b64 s[14:15], s[16:17], 12
	v_mov_b32_e32 v1, s15
	v_add_co_u32_e32 v8, vcc, s14, v8
	v_addc_co_u32_e32 v1, vcc, v9, v1, vcc
	s_movk_i32 s14, 0xff1d
	s_mov_b32 s16, 0
	v_and_or_b32 v2, v2, s14, 34
	v_readfirstlane_b32 s14, v8
	v_readfirstlane_b32 s15, v1
	s_mov_b32 s17, s16
	s_mov_b32 s18, s16
	;; [unrolled: 1-line block ×3, first 2 shown]
	s_nop 1
	global_store_dwordx4 v48, v[2:5], s[14:15]
	s_nop 0
	v_pk_mov_b32 v[2:3], s[16:17], s[16:17] op_sel:[0,1]
	v_pk_mov_b32 v[4:5], s[18:19], s[18:19] op_sel:[0,1]
	global_store_dwordx4 v48, v[2:5], s[14:15] offset:16
	global_store_dwordx4 v48, v[2:5], s[14:15] offset:32
	;; [unrolled: 1-line block ×3, first 2 shown]
	s_and_saveexec_b64 s[14:15], s[6:7]
	s_cbranch_execz .LBB5_189
; %bb.182:
	v_mov_b32_e32 v1, 0
	global_load_dwordx2 v[14:15], v1, s[10:11] offset:32 glc
	global_load_dwordx2 v[2:3], v1, s[10:11] offset:40
	v_mov_b32_e32 v12, s12
	v_mov_b32_e32 v13, s13
	s_waitcnt vmcnt(0)
	v_readfirstlane_b32 s16, v2
	v_readfirstlane_b32 s17, v3
	s_and_b64 s[16:17], s[16:17], s[12:13]
	s_mul_i32 s17, s17, 24
	s_mul_hi_u32 s18, s16, 24
	s_mul_i32 s16, s16, 24
	s_add_i32 s17, s18, s17
	v_mov_b32_e32 v2, s17
	v_add_co_u32_e32 v6, vcc, s16, v6
	v_addc_co_u32_e32 v7, vcc, v7, v2, vcc
	global_store_dwordx2 v[6:7], v[14:15], off
	buffer_wbl2
	s_waitcnt vmcnt(0)
	global_atomic_cmpswap_x2 v[4:5], v1, v[12:15], s[10:11] offset:32 glc
	s_waitcnt vmcnt(0)
	v_cmp_ne_u64_e32 vcc, v[4:5], v[14:15]
	s_and_saveexec_b64 s[16:17], vcc
	s_cbranch_execz .LBB5_185
; %bb.183:
	s_mov_b64 s[18:19], 0
.LBB5_184:                              ; =>This Inner Loop Header: Depth=1
	s_sleep 1
	global_store_dwordx2 v[6:7], v[4:5], off
	v_mov_b32_e32 v2, s12
	v_mov_b32_e32 v3, s13
	buffer_wbl2
	s_waitcnt vmcnt(0)
	global_atomic_cmpswap_x2 v[2:3], v1, v[2:5], s[10:11] offset:32 glc
	s_waitcnt vmcnt(0)
	v_cmp_eq_u64_e32 vcc, v[2:3], v[4:5]
	s_or_b64 s[18:19], vcc, s[18:19]
	v_pk_mov_b32 v[4:5], v[2:3], v[2:3] op_sel:[0,1]
	s_andn2_b64 exec, exec, s[18:19]
	s_cbranch_execnz .LBB5_184
.LBB5_185:
	s_or_b64 exec, exec, s[16:17]
	v_mov_b32_e32 v5, 0
	global_load_dwordx2 v[2:3], v5, s[10:11] offset:16
	s_mov_b64 s[16:17], exec
	v_mbcnt_lo_u32_b32 v1, s16, 0
	v_mbcnt_hi_u32_b32 v1, s17, v1
	v_cmp_eq_u32_e32 vcc, 0, v1
	s_and_saveexec_b64 s[18:19], vcc
	s_cbranch_execz .LBB5_187
; %bb.186:
	s_bcnt1_i32_b64 s16, s[16:17]
	v_mov_b32_e32 v4, s16
	buffer_wbl2
	s_waitcnt vmcnt(0)
	global_atomic_add_x2 v[2:3], v[4:5], off offset:8
.LBB5_187:
	s_or_b64 exec, exec, s[18:19]
	s_waitcnt vmcnt(0)
	global_load_dwordx2 v[4:5], v[2:3], off offset:16
	s_waitcnt vmcnt(0)
	v_cmp_eq_u64_e32 vcc, 0, v[4:5]
	s_cbranch_vccnz .LBB5_189
; %bb.188:
	global_load_dword v2, v[2:3], off offset:24
	v_mov_b32_e32 v3, 0
	s_waitcnt vmcnt(0)
	v_and_b32_e32 v1, 0xffffff, v2
	v_readfirstlane_b32 m0, v1
	buffer_wbl2
	global_store_dwordx2 v[4:5], v[2:3], off
	s_sendmsg sendmsg(MSG_INTERRUPT)
.LBB5_189:
	s_or_b64 exec, exec, s[14:15]
	s_branch .LBB5_193
.LBB5_190:                              ;   in Loop: Header=BB5_193 Depth=1
	s_or_b64 exec, exec, s[14:15]
	v_readfirstlane_b32 s14, v1
	s_cmp_eq_u32 s14, 0
	s_cbranch_scc1 .LBB5_192
; %bb.191:                              ;   in Loop: Header=BB5_193 Depth=1
	s_sleep 1
	s_cbranch_execnz .LBB5_193
	s_branch .LBB5_195
.LBB5_192:
	s_branch .LBB5_195
.LBB5_193:                              ; =>This Inner Loop Header: Depth=1
	v_mov_b32_e32 v1, 1
	s_and_saveexec_b64 s[14:15], s[6:7]
	s_cbranch_execz .LBB5_190
; %bb.194:                              ;   in Loop: Header=BB5_193 Depth=1
	global_load_dword v1, v[10:11], off offset:20 glc
	s_waitcnt vmcnt(0)
	buffer_invl2
	buffer_wbinvl1_vol
	v_and_b32_e32 v1, 1, v1
	s_branch .LBB5_190
.LBB5_195:
	s_and_b64 exec, exec, s[6:7]
	s_cbranch_execz .LBB5_198
; %bb.196:
	v_mov_b32_e32 v1, 0
	global_load_dwordx2 v[6:7], v1, s[10:11] offset:40
	global_load_dwordx2 v[8:9], v1, s[10:11] offset:24 glc
	global_load_dwordx2 v[10:11], v1, s[10:11]
	v_mov_b32_e32 v3, s13
	s_mov_b64 s[6:7], 0
	s_waitcnt vmcnt(2)
	v_add_co_u32_e32 v5, vcc, 1, v6
	v_addc_co_u32_e32 v12, vcc, 0, v7, vcc
	v_add_co_u32_e32 v2, vcc, s12, v5
	v_addc_co_u32_e32 v3, vcc, v12, v3, vcc
	v_cmp_eq_u64_e32 vcc, 0, v[2:3]
	v_cndmask_b32_e32 v3, v3, v12, vcc
	v_cndmask_b32_e32 v2, v2, v5, vcc
	v_and_b32_e32 v5, v3, v7
	v_and_b32_e32 v6, v2, v6
	v_mul_lo_u32 v5, v5, 24
	v_mul_hi_u32 v7, v6, 24
	v_mul_lo_u32 v6, v6, 24
	v_add_u32_e32 v5, v7, v5
	s_waitcnt vmcnt(0)
	v_add_co_u32_e32 v6, vcc, v10, v6
	v_addc_co_u32_e32 v7, vcc, v11, v5, vcc
	v_mov_b32_e32 v4, v8
	global_store_dwordx2 v[6:7], v[8:9], off
	v_mov_b32_e32 v5, v9
	buffer_wbl2
	s_waitcnt vmcnt(0)
	global_atomic_cmpswap_x2 v[4:5], v1, v[2:5], s[10:11] offset:24 glc
	s_waitcnt vmcnt(0)
	v_cmp_ne_u64_e32 vcc, v[4:5], v[8:9]
	s_and_b64 exec, exec, vcc
	s_cbranch_execz .LBB5_198
.LBB5_197:                              ; =>This Inner Loop Header: Depth=1
	s_sleep 1
	global_store_dwordx2 v[6:7], v[4:5], off
	buffer_wbl2
	s_waitcnt vmcnt(0)
	global_atomic_cmpswap_x2 v[8:9], v1, v[2:5], s[10:11] offset:24 glc
	s_waitcnt vmcnt(0)
	v_cmp_eq_u64_e32 vcc, v[8:9], v[4:5]
	s_or_b64 s[6:7], vcc, s[6:7]
	v_pk_mov_b32 v[4:5], v[8:9], v[8:9] op_sel:[0,1]
	s_andn2_b64 exec, exec, s[6:7]
	s_cbranch_execnz .LBB5_197
.LBB5_198:
	s_or_b64 exec, exec, s[8:9]
	v_or_b32_e32 v0, v0, v44
	v_cmp_lt_i32_e32 vcc, -1, v0
	s_xor_b64 s[4:5], s[4:5], -1
	s_and_b64 s[4:5], vcc, s[4:5]
                                        ; implicit-def: $vgpr1
	s_and_saveexec_b64 s[6:7], s[4:5]
	s_xor_b64 s[4:5], exec, s[6:7]
	s_cbranch_execz .LBB5_200
; %bb.199:
	flat_load_dword v0, v[40:41]
	v_lshl_or_b32 v34, v34, 1, 1
	s_waitcnt vmcnt(0) lgkmcnt(0)
	v_ashrrev_i32_e32 v1, 31, v0
	v_add_u32_e32 v2, 1, v0
	flat_store_dword v[40:41], v2
	v_lshlrev_b64 v[2:3], 3, v[0:1]
	v_add_co_u32_e32 v2, vcc, v40, v2
	v_addc_co_u32_e32 v3, vcc, v41, v3, vcc
	flat_store_dwordx2 v[2:3], v[34:35] offset:8
	v_lshl_or_b32 v1, v0, 1, 1
.LBB5_200:
	s_or_saveexec_b64 s[38:39], s[4:5]
	s_mov_b64 s[4:5], s[26:27]
	s_xor_b64 exec, exec, s[38:39]
	s_cbranch_execz .LBB5_202
; %bb.201:
	s_getpc_b64 s[4:5]
	s_add_u32 s4, s4, .str.46@rel32@lo+4
	s_addc_u32 s5, s5, .str.46@rel32@hi+12
	s_getpc_b64 s[6:7]
	s_add_u32 s6, s6, .str.44@rel32@lo+4
	s_addc_u32 s7, s7, .str.44@rel32@hi+12
	s_getpc_b64 s[10:11]
	s_add_u32 s10, s10, __PRETTY_FUNCTION__._ZN8subgUtil18formAndNodeKeyFlagEiii@rel32@lo+4
	s_addc_u32 s11, s11, __PRETTY_FUNCTION__._ZN8subgUtil18formAndNodeKeyFlagEiii@rel32@hi+12
	s_mov_b64 s[8:9], s[34:35]
	v_mov_b32_e32 v0, s4
	v_mov_b32_e32 v1, s5
	;; [unrolled: 1-line block ×7, first 2 shown]
	s_getpc_b64 s[12:13]
	s_add_u32 s12, s12, __assert_fail@rel32@lo+4
	s_addc_u32 s13, s13, __assert_fail@rel32@hi+12
	s_swappc_b64 s[30:31], s[12:13]
	s_or_b64 s[4:5], s[26:27], exec
                                        ; implicit-def: $vgpr1
.LBB5_202:
	s_or_b64 exec, exec, s[38:39]
	s_andn2_b64 s[6:7], s[26:27], exec
	s_and_b64 s[4:5], s[4:5], exec
	s_or_b64 s[26:27], s[6:7], s[4:5]
	s_or_b64 exec, exec, s[28:29]
	s_and_saveexec_b64 s[4:5], s[26:27]
	s_cbranch_execnz .LBB5_4
	s_branch .LBB5_5
.Lfunc_end5:
	.size	_ZN3sop19sopFactorTrivialRecEPjiiPN8subgUtil4SubgILi256EEE, .Lfunc_end5-_ZN3sop19sopFactorTrivialRecEPjiiPN8subgUtil4SubgILi256EEE
                                        ; -- End function
	.section	.AMDGPU.csdata,"",@progbits
; Function info:
; codeLenInByte = 8504
; NumSgprs: 52
; NumVgprs: 58
; NumAgprs: 0
; TotalNumVgprs: 58
; ScratchSize: 144
; MemoryBound: 0
	.text
	.p2align	2                               ; -- Begin function _ZN3sop12sopFactorRecEPNS_3SopEiP7VecsMemIjLi8192EEPN8subgUtil4SubgILi256EEE
	.type	_ZN3sop12sopFactorRecEPNS_3SopEiP7VecsMemIjLi8192EEPN8subgUtil4SubgILi256EEE,@function
_ZN3sop12sopFactorRecEPNS_3SopEiP7VecsMemIjLi8192EEPN8subgUtil4SubgILi256EEE: ; @_ZN3sop12sopFactorRecEPNS_3SopEiP7VecsMemIjLi8192EEPN8subgUtil4SubgILi256EEE
; %bb.0:
	s_waitcnt vmcnt(0) expcnt(0) lgkmcnt(0)
	s_mov_b32 s4, s33
	s_mov_b32 s33, s32
	s_or_saveexec_b64 s[6:7], -1
	buffer_store_dword v63, off, s[0:3], s33 offset:192 ; 4-byte Folded Spill
	buffer_store_dword v62, off, s[0:3], s33 offset:196 ; 4-byte Folded Spill
	s_mov_b64 exec, s[6:7]
	v_writelane_b32 v63, s4, 62
	s_addk_i32 s32, 0x3400
	buffer_store_dword v40, off, s[0:3], s33 offset:76 ; 4-byte Folded Spill
	buffer_store_dword v41, off, s[0:3], s33 offset:72 ; 4-byte Folded Spill
	;; [unrolled: 1-line block ×19, first 2 shown]
	buffer_store_dword a37, off, s[0:3], s33 ; 4-byte Folded Spill
	v_writelane_b32 v63, s34, 0
	v_writelane_b32 v63, s35, 1
	;; [unrolled: 1-line block ×62, first 2 shown]
	v_mov_b32_e32 v25, v1
	v_mov_b32_e32 v24, v0
	flat_load_dword v60, v[24:25] offset:4
	v_mov_b32_e32 v21, v6
	v_mov_b32_e32 v20, v5
	;; [unrolled: 1-line block ×5, first 2 shown]
	s_mov_b64 s[48:49], s[8:9]
	s_mov_b64 s[50:51], 0
	s_waitcnt vmcnt(0) lgkmcnt(0)
	v_cmp_gt_i32_e32 vcc, 1, v60
	s_and_saveexec_b64 s[4:5], vcc
	s_xor_b64 s[26:27], exec, s[4:5]
	s_cbranch_execz .LBB6_5
; %bb.1:
	s_getpc_b64 s[4:5]
	s_add_u32 s4, s4, .str.33@rel32@lo+4
	s_addc_u32 s5, s5, .str.33@rel32@hi+12
	s_getpc_b64 s[6:7]
	s_add_u32 s6, s6, .str.31@rel32@lo+4
	s_addc_u32 s7, s7, .str.31@rel32@hi+12
	s_getpc_b64 s[10:11]
	s_add_u32 s10, s10, __PRETTY_FUNCTION__._ZN3sop12sopFactorRecEPNS_3SopEiP7VecsMemIjLi8192EEPN8subgUtil4SubgILi256EEE@rel32@lo+4
	s_addc_u32 s11, s11, __PRETTY_FUNCTION__._ZN3sop12sopFactorRecEPNS_3SopEiP7VecsMemIjLi8192EEPN8subgUtil4SubgILi256EEE@rel32@hi+12
	s_mov_b64 s[8:9], s[48:49]
	v_mov_b32_e32 v0, s4
	v_mov_b32_e32 v1, s5
	;; [unrolled: 1-line block ×7, first 2 shown]
	s_getpc_b64 s[12:13]
	s_add_u32 s12, s12, __assert_fail@rel32@lo+4
	s_addc_u32 s13, s13, __assert_fail@rel32@hi+12
	s_swappc_b64 s[30:31], s[12:13]
	s_mov_b64 s[50:51], exec
                                        ; implicit-def: $vgpr20
                                        ; implicit-def: $vgpr60
                                        ; implicit-def: $vgpr41
                                        ; implicit-def: $vgpr24_vgpr25
                                        ; implicit-def: $vgpr22
	s_or_saveexec_b64 s[52:53], s[26:27]
                                        ; implicit-def: $vgpr40
	s_xor_b64 exec, exec, s[52:53]
	s_cbranch_execnz .LBB6_6
.LBB6_2:
	s_or_b64 exec, exec, s[52:53]
	s_and_saveexec_b64 s[4:5], s[50:51]
.LBB6_3:
	; divergent unreachable
.LBB6_4:
	s_or_b64 exec, exec, s[4:5]
	v_mov_b32_e32 v0, v40
	buffer_load_dword a37, off, s[0:3], s33 ; 4-byte Folded Reload
	buffer_load_dword a36, off, s[0:3], s33 offset:4 ; 4-byte Folded Reload
	buffer_load_dword a35, off, s[0:3], s33 offset:8 ; 4-byte Folded Reload
	;; [unrolled: 1-line block ×7, first 2 shown]
	s_waitcnt lgkmcnt(0)
	buffer_load_dword v59, off, s[0:3], s33 offset:32 ; 4-byte Folded Reload
	buffer_load_dword v58, off, s[0:3], s33 offset:36 ; 4-byte Folded Reload
	;; [unrolled: 1-line block ×12, first 2 shown]
	v_readlane_b32 s30, v63, 60
	v_readlane_b32 s31, v63, 61
	;; [unrolled: 1-line block ×63, first 2 shown]
	s_or_saveexec_b64 s[6:7], -1
	buffer_load_dword v63, off, s[0:3], s33 offset:192 ; 4-byte Folded Reload
	buffer_load_dword v62, off, s[0:3], s33 offset:196 ; 4-byte Folded Reload
	s_mov_b64 exec, s[6:7]
	s_addk_i32 s32, 0xcc00
	s_mov_b32 s33, s4
	s_waitcnt vmcnt(0)
	s_setpc_b64 s[30:31]
.LBB6_5:
	s_or_saveexec_b64 s[52:53], s[26:27]
                                        ; implicit-def: $vgpr40
	s_xor_b64 exec, exec, s[52:53]
	s_cbranch_execz .LBB6_2
.LBB6_6:
	flat_load_dwordx2 v[58:59], v[24:25] offset:8
	v_cmp_ne_u32_e32 vcc, 1, v60
	v_cmp_lt_i32_e64 s[4:5], 0, v41
	s_mov_b32 s18, 0
	s_and_b64 s[8:9], s[4:5], vcc
	s_mov_b64 s[4:5], -1
	s_mov_b64 s[54:55], 0
	s_and_saveexec_b64 s[6:7], s[8:9]
	s_cbranch_execz .LBB6_17
; %bb.7:
	v_bfe_u32 v0, v60, 1, 30
	v_mov_b32_e32 v1, 0
	v_lshlrev_b64 v[0:1], 3, v[0:1]
	v_and_b32_e32 v4, 0x7ffffffe, v60
	s_waitcnt vmcnt(0) lgkmcnt(0)
	v_add_co_u32_e64 v0, s[4:5], v58, v0
	v_cmp_ne_u32_e32 vcc, v60, v4
	v_and_b32_e32 v5, 0x80000001, v60
	v_addc_co_u32_e64 v1, s[4:5], v59, v1, s[4:5]
	s_mov_b64 s[10:11], 0
                                        ; implicit-def: $sgpr8_sgpr9
	s_branch .LBB6_9
.LBB6_8:                                ;   in Loop: Header=BB6_9 Depth=1
	s_or_b64 exec, exec, s[16:17]
	s_xor_b64 s[4:5], s[14:15], -1
	s_and_b64 s[12:13], exec, s[12:13]
	s_or_b64 s[10:11], s[12:13], s[10:11]
	s_andn2_b64 s[8:9], s[8:9], exec
	s_and_b64 s[4:5], s[4:5], exec
	s_or_b64 s[8:9], s[8:9], s[4:5]
	s_andn2_b64 exec, exec, s[10:11]
	s_cbranch_execz .LBB6_19
.LBB6_9:                                ; =>This Loop Header: Depth=1
                                        ;     Child Loop BB6_10 Depth 2
                                        ;     Child Loop BB6_13 Depth 2
	s_mov_b32 s14, s18
	s_mov_b64 s[12:13], 0
	v_mov_b32_e32 v7, v4
	v_pk_mov_b32 v[2:3], v[58:59], v[58:59] op_sel:[0,1]
	v_mov_b32_e32 v6, 0
	v_mov_b32_e32 v8, 0
.LBB6_10:                               ;   Parent Loop BB6_9 Depth=1
                                        ; =>  This Inner Loop Header: Depth=2
	flat_load_dwordx2 v[10:11], v[2:3]
	v_add_co_u32_e64 v2, s[4:5], 8, v2
	v_addc_co_u32_e64 v3, s[4:5], 0, v3, s[4:5]
	v_add_u32_e32 v7, -2, v7
	v_cmp_eq_u32_e64 s[4:5], 0, v7
	s_or_b64 s[12:13], s[4:5], s[12:13]
	s_waitcnt vmcnt(0) lgkmcnt(0)
	v_bfe_u32 v9, v10, s18, 1
	v_bfe_u32 v10, v11, s14, 1
	v_add_u32_e32 v8, v10, v8
	v_add_u32_e32 v6, v9, v6
	s_andn2_b64 exec, exec, s[12:13]
	s_cbranch_execnz .LBB6_10
; %bb.11:                               ;   in Loop: Header=BB6_9 Depth=1
	s_or_b64 exec, exec, s[12:13]
	v_add_u32_e32 v6, v6, v8
	s_and_saveexec_b64 s[12:13], vcc
	s_cbranch_execz .LBB6_15
; %bb.12:                               ;   in Loop: Header=BB6_9 Depth=1
	s_mov_b64 s[14:15], 0
	v_pk_mov_b32 v[2:3], v[0:1], v[0:1] op_sel:[0,1]
	v_mov_b32_e32 v7, v5
.LBB6_13:                               ;   Parent Loop BB6_9 Depth=1
                                        ; =>  This Inner Loop Header: Depth=2
	flat_load_dword v8, v[2:3]
	v_add_co_u32_e64 v2, s[4:5], 4, v2
	v_add_u32_e32 v7, -1, v7
	v_addc_co_u32_e64 v3, s[4:5], 0, v3, s[4:5]
	v_cmp_eq_u32_e64 s[4:5], 0, v7
	s_or_b64 s[14:15], s[4:5], s[14:15]
	s_waitcnt vmcnt(0) lgkmcnt(0)
	v_bfe_u32 v8, v8, s18, 1
	v_add_u32_e32 v6, v8, v6
	s_andn2_b64 exec, exec, s[14:15]
	s_cbranch_execnz .LBB6_13
; %bb.14:                               ;   in Loop: Header=BB6_9 Depth=1
	s_or_b64 exec, exec, s[14:15]
.LBB6_15:                               ;   in Loop: Header=BB6_9 Depth=1
	s_or_b64 exec, exec, s[12:13]
	v_cmp_gt_u32_e64 s[4:5], 2, v6
	s_mov_b64 s[12:13], -1
	s_mov_b64 s[14:15], -1
	s_and_saveexec_b64 s[16:17], s[4:5]
	s_cbranch_execz .LBB6_8
; %bb.16:                               ;   in Loop: Header=BB6_9 Depth=1
	s_add_i32 s18, s18, 1
	v_cmp_eq_u32_e64 s[4:5], s18, v41
	s_xor_b64 s[14:15], exec, -1
	s_orn2_b64 s[12:13], s[4:5], exec
	s_branch .LBB6_8
.LBB6_17:
	s_or_b64 exec, exec, s[6:7]
                                        ; implicit-def: $vgpr40
	s_and_saveexec_b64 s[56:57], s[4:5]
	s_cbranch_execz .LBB6_20
.LBB6_18:
	s_mov_b64 s[8:9], s[48:49]
	s_waitcnt vmcnt(0) lgkmcnt(0)
	v_mov_b32_e32 v0, v58
	v_mov_b32_e32 v1, v59
	v_mov_b32_e32 v2, v60
	v_mov_b32_e32 v3, v41
	v_mov_b32_e32 v4, v20
	v_mov_b32_e32 v5, v21
	v_accvgpr_write_b32 a33, v21
	v_accvgpr_write_b32 a35, v23
	;; [unrolled: 1-line block ×3, first 2 shown]
	s_getpc_b64 s[4:5]
	s_add_u32 s4, s4, _ZN3sop19sopFactorTrivialRecEPjiiPN8subgUtil4SubgILi256EEE@rel32@lo+4
	s_addc_u32 s5, s5, _ZN3sop19sopFactorTrivialRecEPjiiPN8subgUtil4SubgILi256EEE@rel32@hi+12
	v_accvgpr_write_b32 a32, v20
	v_accvgpr_write_b32 a34, v22
	;; [unrolled: 1-line block ×3, first 2 shown]
	s_swappc_b64 s[30:31], s[4:5]
	v_accvgpr_read_b32 v24, a36
	v_accvgpr_read_b32 v22, a34
	;; [unrolled: 1-line block ×6, first 2 shown]
	v_mov_b32_e32 v40, v0
	s_andn2_b64 s[54:55], s[54:55], exec
	s_or_b64 exec, exec, s[56:57]
	s_mov_b64 s[4:5], s[50:51]
	s_and_saveexec_b64 s[34:35], s[54:55]
	s_cbranch_execz .LBB6_2117
	s_branch .LBB6_21
.LBB6_19:
	s_or_b64 exec, exec, s[10:11]
	s_mov_b64 s[54:55], exec
	s_orn2_b64 s[4:5], s[8:9], exec
	s_or_b64 exec, exec, s[6:7]
                                        ; implicit-def: $vgpr40
	s_and_saveexec_b64 s[56:57], s[4:5]
	s_cbranch_execnz .LBB6_18
.LBB6_20:
	s_or_b64 exec, exec, s[56:57]
	s_mov_b64 s[4:5], s[50:51]
	s_and_saveexec_b64 s[34:35], s[54:55]
	s_cbranch_execz .LBB6_2117
.LBB6_21:
	flat_load_dword v0, v[22:23]
	s_movk_i32 s4, 0x2001
	v_mov_b32_e32 v61, 0
	s_mov_b64 s[26:27], s[50:51]
	buffer_store_dword v61, off, s[0:3], s33 offset:148
                                        ; implicit-def: $vgpr40
	s_waitcnt vmcnt(0) lgkmcnt(0)
	v_add_u32_e32 v0, v0, v60
	v_cmp_gt_i32_e32 vcc, s4, v0
	s_and_saveexec_b64 s[4:5], vcc
	s_xor_b64 s[36:37], exec, s[4:5]
	s_cbranch_execz .LBB6_1977
; %bb.22:
	v_ashrrev_i32_e32 v1, 31, v0
	flat_store_dword v[22:23], v0
	v_lshlrev_b64 v[0:1], 2, v[0:1]
	v_add_co_u32_e32 v2, vcc, v22, v0
	v_addc_co_u32_e32 v3, vcc, v23, v1, vcc
	v_lshlrev_b64 v[4:5], 2, v[60:61]
	v_sub_co_u32_e32 v2, vcc, v2, v4
	v_subb_co_u32_e32 v3, vcc, v3, v5, vcc
	v_add_co_u32_e32 v42, vcc, 4, v2
	v_addc_co_u32_e32 v43, vcc, 0, v3, vcc
	s_mov_b32 s8, 0
	s_mov_b64 s[4:5], 0
	s_mov_b64 s[6:7], 0
	buffer_store_dword v43, off, s[0:3], s33 offset:156
	buffer_store_dword v42, off, s[0:3], s33 offset:152
.LBB6_23:                               ; =>This Inner Loop Header: Depth=1
	v_mov_b32_e32 v6, s7
	v_add_co_u32_e32 v2, vcc, s6, v58
	v_addc_co_u32_e32 v3, vcc, v59, v6, vcc
	flat_load_dword v7, v[2:3]
	v_add_co_u32_e32 v2, vcc, s6, v42
	v_addc_co_u32_e32 v3, vcc, v43, v6, vcc
	s_add_i32 s8, s8, 1
	s_add_u32 s6, s6, 4
	s_addc_u32 s7, s7, 0
	s_waitcnt vmcnt(0) lgkmcnt(0)
	flat_store_dword v[2:3], v7
	flat_load_dword v2, v[24:25] offset:4
	s_waitcnt vmcnt(0) lgkmcnt(0)
	v_cmp_ge_i32_e32 vcc, s8, v2
	s_or_b64 s[4:5], vcc, s[4:5]
	v_mov_b32_e32 v2, s8
	s_andn2_b64 exec, exec, s[4:5]
	s_cbranch_execnz .LBB6_23
; %bb.24:
	s_or_b64 exec, exec, s[4:5]
	v_sub_co_u32_e32 v0, vcc, v0, v4
	v_subb_co_u32_e32 v1, vcc, v1, v5, vcc
	v_add_co_u32_e32 v0, vcc, v0, v22
	v_addc_co_u32_e32 v1, vcc, v1, v23, vcc
	v_add_co_u32_e32 v8, vcc, 4, v0
	v_addc_co_u32_e32 v9, vcc, 0, v1, vcc
	s_mov_b64 s[16:17], 0
	v_mov_b32_e32 v1, 0
	s_mov_b32 s24, 0xf4240
                                        ; implicit-def: $sgpr26_sgpr27
                                        ; implicit-def: $sgpr14_sgpr15
	s_branch .LBB6_28
.LBB6_25:                               ;   in Loop: Header=BB6_28 Depth=1
	s_or_b64 exec, exec, s[12:13]
.LBB6_26:                               ;   in Loop: Header=BB6_28 Depth=1
	s_or_b64 exec, exec, s[8:9]
	s_xor_b64 s[8:9], exec, -1
.LBB6_27:                               ;   in Loop: Header=BB6_28 Depth=1
	s_or_b64 exec, exec, s[10:11]
	s_and_b64 s[6:7], exec, s[8:9]
	s_or_b64 s[16:17], s[6:7], s[16:17]
	s_andn2_b64 s[6:7], s[14:15], exec
	s_and_b64 s[4:5], s[4:5], exec
	s_or_b64 s[14:15], s[6:7], s[4:5]
	s_andn2_b64 s[4:5], s[26:27], exec
	s_and_b64 s[6:7], vcc, exec
	s_or_b64 s[26:27], s[4:5], s[6:7]
	s_andn2_b64 exec, exec, s[16:17]
	s_cbranch_execz .LBB6_66
.LBB6_28:                               ; =>This Loop Header: Depth=1
                                        ;     Child Loop BB6_31 Depth 2
                                        ;       Child Loop BB6_34 Depth 3
                                        ;       Child Loop BB6_38 Depth 3
                                        ;     Child Loop BB6_44 Depth 2
                                        ;     Child Loop BB6_50 Depth 2
                                        ;     Child Loop BB6_54 Depth 2
                                        ;     Child Loop BB6_60 Depth 2
                                        ;     Child Loop BB6_64 Depth 2
	v_mov_b32_e32 v45, v2
	v_and_b32_e32 v6, 0x7ffffffe, v45
	v_cmp_lt_i32_e64 s[6:7], 0, v45
	v_cmp_gt_i32_e64 s[4:5], 1, v45
	v_cmp_ne_u32_e32 vcc, 1, v45
	v_cmp_ne_u32_e64 s[8:9], v45, v6
	v_mov_b32_e32 v5, 0xf4240
	v_mov_b32_e32 v4, -1
	s_mov_b64 s[18:19], 0
	s_mov_b32 s25, 0
	s_branch .LBB6_31
.LBB6_29:                               ;   in Loop: Header=BB6_31 Depth=2
	s_or_b64 exec, exec, s[20:21]
.LBB6_30:                               ;   in Loop: Header=BB6_31 Depth=2
	s_or_b64 exec, exec, s[12:13]
	v_cmp_lt_i32_e64 s[10:11], 1, v7
	v_cmp_gt_i32_e64 s[12:13], v5, v7
	v_mov_b32_e32 v0, s25
	s_add_i32 s25, s25, 1
	s_and_b64 s[10:11], s[10:11], s[12:13]
	v_cmp_eq_u32_e64 s[12:13], s25, v41
	v_cndmask_b32_e64 v4, v4, v0, s[10:11]
	s_or_b64 s[18:19], s[12:13], s[18:19]
	v_cndmask_b32_e64 v5, v5, v7, s[10:11]
	s_andn2_b64 exec, exec, s[18:19]
	s_cbranch_execz .LBB6_40
.LBB6_31:                               ;   Parent Loop BB6_28 Depth=1
                                        ; =>  This Loop Header: Depth=2
                                        ;       Child Loop BB6_34 Depth 3
                                        ;       Child Loop BB6_38 Depth 3
	v_mov_b32_e32 v7, 0
	s_and_saveexec_b64 s[12:13], s[6:7]
	s_cbranch_execz .LBB6_30
; %bb.32:                               ;   in Loop: Header=BB6_31 Depth=2
	s_mov_b64 s[10:11], -1
	v_mov_b32_e32 v0, 0
	v_mov_b32_e32 v7, 0
	s_and_saveexec_b64 s[20:21], vcc
	s_cbranch_execz .LBB6_36
; %bb.33:                               ;   in Loop: Header=BB6_31 Depth=2
	s_mov_b32 s28, s25
	s_mov_b64 s[22:23], 0
	v_mov_b32_e32 v0, 0
	v_mov_b32_e32 v7, v6
	v_pk_mov_b32 v[2:3], v[42:43], v[42:43] op_sel:[0,1]
	v_mov_b32_e32 v10, 0
.LBB6_34:                               ;   Parent Loop BB6_28 Depth=1
                                        ;     Parent Loop BB6_31 Depth=2
                                        ; =>    This Inner Loop Header: Depth=3
	flat_load_dwordx2 v[12:13], v[2:3]
	v_add_co_u32_e64 v2, s[10:11], 8, v2
	v_addc_co_u32_e64 v3, s[10:11], 0, v3, s[10:11]
	v_add_u32_e32 v7, -2, v7
	v_cmp_eq_u32_e64 s[10:11], 0, v7
	s_or_b64 s[22:23], s[10:11], s[22:23]
	s_waitcnt vmcnt(0) lgkmcnt(0)
	v_bfe_u32 v11, v12, s25, 1
	v_bfe_u32 v12, v13, s28, 1
	v_add_u32_e32 v10, v12, v10
	v_add_u32_e32 v0, v11, v0
	s_andn2_b64 exec, exec, s[22:23]
	s_cbranch_execnz .LBB6_34
; %bb.35:                               ;   in Loop: Header=BB6_31 Depth=2
	s_or_b64 exec, exec, s[22:23]
	v_add_u32_e32 v7, v0, v10
	s_orn2_b64 s[10:11], s[8:9], exec
	v_mov_b32_e32 v0, v6
.LBB6_36:                               ;   in Loop: Header=BB6_31 Depth=2
	s_or_b64 exec, exec, s[20:21]
	s_and_saveexec_b64 s[20:21], s[10:11]
	s_cbranch_execz .LBB6_29
; %bb.37:                               ;   in Loop: Header=BB6_31 Depth=2
	v_lshlrev_b64 v[2:3], 2, v[0:1]
	v_add_co_u32_e64 v2, s[10:11], v8, v2
	v_sub_u32_e32 v10, v45, v0
	v_addc_co_u32_e64 v3, s[10:11], v9, v3, s[10:11]
	s_mov_b64 s[22:23], 0
.LBB6_38:                               ;   Parent Loop BB6_28 Depth=1
                                        ;     Parent Loop BB6_31 Depth=2
                                        ; =>    This Inner Loop Header: Depth=3
	flat_load_dword v0, v[2:3]
	v_add_co_u32_e64 v2, s[10:11], 4, v2
	v_add_u32_e32 v10, -1, v10
	v_addc_co_u32_e64 v3, s[10:11], 0, v3, s[10:11]
	v_cmp_eq_u32_e64 s[10:11], 0, v10
	s_or_b64 s[22:23], s[10:11], s[22:23]
	s_waitcnt vmcnt(0) lgkmcnt(0)
	v_bfe_u32 v0, v0, s25, 1
	v_add_u32_e32 v7, v0, v7
	s_andn2_b64 exec, exec, s[22:23]
	s_cbranch_execnz .LBB6_38
; %bb.39:                               ;   in Loop: Header=BB6_31 Depth=2
	s_or_b64 exec, exec, s[22:23]
	s_branch .LBB6_29
.LBB6_40:                               ;   in Loop: Header=BB6_28 Depth=1
	s_or_b64 exec, exec, s[18:19]
	v_cmp_gt_i32_e64 s[8:9], s24, v5
	v_cmp_ne_u32_e64 s[10:11], -1, v4
	s_and_b64 s[12:13], s[8:9], s[10:11]
	s_mov_b64 s[8:9], -1
                                        ; implicit-def: $vgpr2
	s_and_saveexec_b64 s[10:11], s[12:13]
	s_cbranch_execz .LBB6_27
; %bb.41:                               ;   in Loop: Header=BB6_28 Depth=1
	v_mov_b32_e32 v2, 0
	s_and_saveexec_b64 s[8:9], s[6:7]
	s_cbranch_execz .LBB6_47
; %bb.42:                               ;   in Loop: Header=BB6_28 Depth=1
	v_lshlrev_b32_e64 v0, v4, 1
	v_not_b32_e32 v6, v0
	s_mov_b32 s20, 0
	s_mov_b64 s[12:13], 0
	v_mov_b32_e32 v2, 0
	v_pk_mov_b32 v[4:5], v[42:43], v[42:43] op_sel:[0,1]
	s_branch .LBB6_44
.LBB6_43:                               ;   in Loop: Header=BB6_44 Depth=2
	s_or_b64 exec, exec, s[18:19]
	s_add_i32 s20, s20, 1
	v_cmp_ge_i32_e64 s[6:7], s20, v45
	s_or_b64 s[12:13], s[6:7], s[12:13]
	v_add_co_u32_e64 v4, s[6:7], 4, v4
	v_addc_co_u32_e64 v5, s[6:7], 0, v5, s[6:7]
	s_andn2_b64 exec, exec, s[12:13]
	s_cbranch_execz .LBB6_46
.LBB6_44:                               ;   Parent Loop BB6_28 Depth=1
                                        ; =>  This Inner Loop Header: Depth=2
	flat_load_dword v3, v[4:5]
	s_waitcnt vmcnt(0) lgkmcnt(0)
	v_and_b32_e32 v7, v3, v0
	v_cmp_ne_u32_e64 s[6:7], 0, v7
	s_and_saveexec_b64 s[18:19], s[6:7]
	s_cbranch_execz .LBB6_43
; %bb.45:                               ;   in Loop: Header=BB6_44 Depth=2
	v_and_b32_e32 v7, v3, v6
	v_ashrrev_i32_e32 v3, 31, v2
	v_add_u32_e32 v10, 1, v2
	v_lshlrev_b64 v[2:3], 2, v[2:3]
	v_add_co_u32_e64 v2, s[6:7], v42, v2
	v_addc_co_u32_e64 v3, s[6:7], v43, v3, s[6:7]
	flat_store_dword v[2:3], v7
	v_mov_b32_e32 v2, v10
	s_branch .LBB6_43
.LBB6_46:                               ;   in Loop: Header=BB6_28 Depth=1
	s_or_b64 exec, exec, s[12:13]
.LBB6_47:                               ;   in Loop: Header=BB6_28 Depth=1
	s_or_b64 exec, exec, s[8:9]
	v_cmp_gt_i32_e64 s[6:7], 1, v2
	v_cmp_lt_i32_e64 s[8:9], 0, v2
	v_mov_b32_e32 v3, -1
	s_and_saveexec_b64 s[12:13], s[8:9]
	s_cbranch_execz .LBB6_57
; %bb.48:                               ;   in Loop: Header=BB6_28 Depth=1
	v_cmp_ne_u32_e64 s[8:9], 1, v2
	s_mov_b64 s[20:21], -1
	v_mov_b32_e32 v3, -1
	v_mov_b32_e32 v0, 0
	s_and_saveexec_b64 s[18:19], s[8:9]
	s_cbranch_execz .LBB6_52
; %bb.49:                               ;   in Loop: Header=BB6_28 Depth=1
	v_and_b32_e32 v0, 0x7ffffffe, v2
	s_mov_b64 s[20:21], 0
	v_mov_b32_e32 v3, -1
	v_mov_b32_e32 v6, v0
	v_pk_mov_b32 v[4:5], v[42:43], v[42:43] op_sel:[0,1]
	v_mov_b32_e32 v7, -1
.LBB6_50:                               ;   Parent Loop BB6_28 Depth=1
                                        ; =>  This Inner Loop Header: Depth=2
	flat_load_dwordx2 v[10:11], v[4:5]
	v_add_co_u32_e64 v4, s[8:9], 8, v4
	v_addc_co_u32_e64 v5, s[8:9], 0, v5, s[8:9]
	v_add_u32_e32 v6, -2, v6
	v_cmp_eq_u32_e64 s[8:9], 0, v6
	s_or_b64 s[20:21], s[8:9], s[20:21]
	s_waitcnt vmcnt(0) lgkmcnt(0)
	v_and_b32_e32 v7, v11, v7
	v_and_b32_e32 v3, v10, v3
	s_andn2_b64 exec, exec, s[20:21]
	s_cbranch_execnz .LBB6_50
; %bb.51:                               ;   in Loop: Header=BB6_28 Depth=1
	s_or_b64 exec, exec, s[20:21]
	v_cmp_ne_u32_e64 s[8:9], v2, v0
	v_and_b32_e32 v3, v3, v7
	s_orn2_b64 s[20:21], s[8:9], exec
.LBB6_52:                               ;   in Loop: Header=BB6_28 Depth=1
	s_or_b64 exec, exec, s[18:19]
	s_and_saveexec_b64 s[18:19], s[20:21]
	s_cbranch_execz .LBB6_56
; %bb.53:                               ;   in Loop: Header=BB6_28 Depth=1
	v_lshlrev_b64 v[4:5], 2, v[0:1]
	v_add_co_u32_e64 v4, s[8:9], v8, v4
	v_sub_u32_e32 v6, v2, v0
	v_addc_co_u32_e64 v5, s[8:9], v9, v5, s[8:9]
	s_mov_b64 s[20:21], 0
.LBB6_54:                               ;   Parent Loop BB6_28 Depth=1
                                        ; =>  This Inner Loop Header: Depth=2
	flat_load_dword v0, v[4:5]
	v_add_co_u32_e64 v4, s[8:9], 4, v4
	v_add_u32_e32 v6, -1, v6
	v_addc_co_u32_e64 v5, s[8:9], 0, v5, s[8:9]
	v_cmp_eq_u32_e64 s[8:9], 0, v6
	s_or_b64 s[20:21], s[8:9], s[20:21]
	s_waitcnt vmcnt(0) lgkmcnt(0)
	v_and_b32_e32 v3, v0, v3
	s_andn2_b64 exec, exec, s[20:21]
	s_cbranch_execnz .LBB6_54
; %bb.55:                               ;   in Loop: Header=BB6_28 Depth=1
	s_or_b64 exec, exec, s[20:21]
.LBB6_56:                               ;   in Loop: Header=BB6_28 Depth=1
	s_or_b64 exec, exec, s[18:19]
.LBB6_57:                               ;   in Loop: Header=BB6_28 Depth=1
	s_or_b64 exec, exec, s[12:13]
	v_cmp_ne_u32_e64 s[8:9], 0, v3
	s_xor_b64 s[6:7], s[6:7], -1
	s_and_b64 s[6:7], s[6:7], s[8:9]
	s_and_saveexec_b64 s[8:9], s[6:7]
	s_xor_b64 s[8:9], exec, s[8:9]
	s_cbranch_execz .LBB6_26
; %bb.58:                               ;   in Loop: Header=BB6_28 Depth=1
	v_not_b32_e32 v4, v3
	v_cmp_lt_u32_e64 s[6:7], 1, v2
	s_mov_b64 s[18:19], -1
	v_mov_b32_e32 v0, 0
	s_and_saveexec_b64 s[12:13], s[6:7]
	s_cbranch_execz .LBB6_62
; %bb.59:                               ;   in Loop: Header=BB6_28 Depth=1
	v_and_b32_e32 v0, 0x7ffffffe, v2
	v_mov_b32_e32 v3, v4
	s_mov_b64 s[18:19], 0
	v_mov_b32_e32 v5, v0
	v_pk_mov_b32 v[6:7], v[42:43], v[42:43] op_sel:[0,1]
.LBB6_60:                               ;   Parent Loop BB6_28 Depth=1
                                        ; =>  This Inner Loop Header: Depth=2
	flat_load_dwordx2 v[10:11], v[6:7]
	v_add_u32_e32 v5, -2, v5
	v_cmp_eq_u32_e64 s[6:7], 0, v5
	s_or_b64 s[18:19], s[6:7], s[18:19]
	s_waitcnt vmcnt(0) lgkmcnt(0)
	v_and_b32_e32 v11, v11, v3
	v_and_b32_e32 v10, v10, v4
	flat_store_dwordx2 v[6:7], v[10:11]
	v_add_co_u32_e64 v6, s[6:7], 8, v6
	v_addc_co_u32_e64 v7, s[6:7], 0, v7, s[6:7]
	s_andn2_b64 exec, exec, s[18:19]
	s_cbranch_execnz .LBB6_60
; %bb.61:                               ;   in Loop: Header=BB6_28 Depth=1
	s_or_b64 exec, exec, s[18:19]
	v_cmp_ne_u32_e64 s[6:7], v2, v0
	s_orn2_b64 s[18:19], s[6:7], exec
.LBB6_62:                               ;   in Loop: Header=BB6_28 Depth=1
	s_or_b64 exec, exec, s[12:13]
	s_and_saveexec_b64 s[12:13], s[18:19]
	s_cbranch_execz .LBB6_25
; %bb.63:                               ;   in Loop: Header=BB6_28 Depth=1
	v_lshlrev_b64 v[6:7], 2, v[0:1]
	v_add_co_u32_e64 v6, s[6:7], v8, v6
	v_sub_u32_e32 v3, v2, v0
	v_addc_co_u32_e64 v7, s[6:7], v9, v7, s[6:7]
	s_mov_b64 s[18:19], 0
.LBB6_64:                               ;   Parent Loop BB6_28 Depth=1
                                        ; =>  This Inner Loop Header: Depth=2
	flat_load_dword v0, v[6:7]
	v_add_u32_e32 v3, -1, v3
	v_cmp_eq_u32_e64 s[6:7], 0, v3
	s_or_b64 s[18:19], s[6:7], s[18:19]
	s_waitcnt vmcnt(0) lgkmcnt(0)
	v_and_b32_e32 v0, v0, v4
	flat_store_dword v[6:7], v0
	v_add_co_u32_e64 v6, s[6:7], 4, v6
	v_addc_co_u32_e64 v7, s[6:7], 0, v7, s[6:7]
	s_andn2_b64 exec, exec, s[18:19]
	s_cbranch_execnz .LBB6_64
; %bb.65:                               ;   in Loop: Header=BB6_28 Depth=1
	s_or_b64 exec, exec, s[18:19]
	s_branch .LBB6_25
.LBB6_66:
	s_or_b64 exec, exec, s[16:17]
	s_mov_b64 s[28:29], s[50:51]
	buffer_store_dword v45, off, s[0:3], s33 offset:148
	s_and_saveexec_b64 s[4:5], s[14:15]
	s_xor_b64 s[38:39], exec, s[4:5]
	s_cbranch_execz .LBB6_68
; %bb.67:
	s_getpc_b64 s[4:5]
	s_add_u32 s4, s4, .str.35@rel32@lo+4
	s_addc_u32 s5, s5, .str.35@rel32@hi+12
	s_getpc_b64 s[6:7]
	s_add_u32 s6, s6, .str.31@rel32@lo+4
	s_addc_u32 s7, s7, .str.31@rel32@hi+12
	s_getpc_b64 s[10:11]
	s_add_u32 s10, s10, __PRETTY_FUNCTION__._ZN3sop10sopDivisorEPNS_3SopES1_iP7VecsMemIjLi8192EE@rel32@lo+4
	s_addc_u32 s11, s11, __PRETTY_FUNCTION__._ZN3sop10sopDivisorEPNS_3SopES1_iP7VecsMemIjLi8192EE@rel32@hi+12
	s_mov_b64 s[8:9], s[48:49]
	v_mov_b32_e32 v0, s4
	v_mov_b32_e32 v1, s5
	;; [unrolled: 1-line block ×7, first 2 shown]
	s_getpc_b64 s[12:13]
	s_add_u32 s12, s12, __assert_fail@rel32@lo+4
	s_addc_u32 s13, s13, __assert_fail@rel32@hi+12
	s_swappc_b64 s[30:31], s[12:13]
	s_or_b64 s[28:29], s[50:51], exec
                                        ; implicit-def: $vgpr58_vgpr59
                                        ; implicit-def: $vgpr42_vgpr43
                                        ; implicit-def: $vgpr22_vgpr23
                                        ; implicit-def: $vgpr20_vgpr21
                                        ; implicit-def: $vgpr41
                                        ; implicit-def: $vgpr24_vgpr25
.LBB6_68:
	s_or_saveexec_b64 s[46:47], s[38:39]
                                        ; implicit-def: $vgpr40
	s_xor_b64 exec, exec, s[46:47]
	s_cbranch_execz .LBB6_1976
; %bb.69:
	flat_load_dword v44, v[24:25] offset:4
	s_mov_b64 s[38:39], s[28:29]
                                        ; implicit-def: $vgpr40
	s_waitcnt vmcnt(0) lgkmcnt(0)
	v_cmp_ge_i32_e32 vcc, v44, v45
	s_and_saveexec_b64 s[4:5], vcc
	s_xor_b64 s[54:55], exec, s[4:5]
	s_cbranch_execz .LBB6_1973
; %bb.70:
	s_mov_b64 s[56:57], 0
	s_mov_b64 s[4:5], 0
	;; [unrolled: 1-line block ×3, first 2 shown]
                                        ; implicit-def: $vgpr46
                                        ; implicit-def: $vgpr54_vgpr55
	s_and_saveexec_b64 s[6:7], s[26:27]
	s_xor_b64 s[26:27], exec, s[6:7]
	s_cbranch_execz .LBB6_191
; %bb.71:
	v_mov_b32_e32 v0, 0
	v_cmp_le_u32_e32 vcc, v45, v44
	s_mov_b64 s[6:7], -1
	v_pk_mov_b32 v[54:55], 0, 0
	s_mov_b64 s[38:39], s[28:29]
	buffer_store_dword v0, off, s[0:3], s33 offset:164
	s_and_saveexec_b64 s[40:41], vcc
	s_cbranch_execz .LBB6_230
; %bb.72:
	flat_load_dword v2, v[22:23]
	v_cvt_f32_u32_e32 v0, v45
	v_sub_u32_e32 v1, 0, v45
	s_movk_i32 s6, 0x2001
	s_mov_b64 s[42:43], 0
	v_rcp_iflag_f32_e32 v0, v0
	v_pk_mov_b32 v[54:55], 0, 0
	v_mul_f32_e32 v0, 0x4f7ffffe, v0
	v_cvt_u32_f32_e32 v0, v0
	v_mul_lo_u32 v1, v1, v0
	v_mul_hi_u32 v1, v0, v1
	v_add_u32_e32 v0, v0, v1
	v_mad_u64_u32 v[0:1], s[4:5], v44, v0, 0
	v_mul_lo_u32 v0, v1, v45
	v_sub_u32_e32 v0, v44, v0
	v_add_u32_e32 v3, 1, v1
	v_cmp_ge_u32_e32 vcc, v0, v45
	v_cndmask_b32_e32 v1, v1, v3, vcc
	v_sub_u32_e32 v3, v0, v45
	v_cndmask_b32_e32 v0, v0, v3, vcc
	v_add_u32_e32 v3, 1, v1
	v_cmp_ge_u32_e32 vcc, v0, v45
	v_cndmask_b32_e32 v0, v1, v3, vcc
	s_waitcnt vmcnt(0) lgkmcnt(0)
	v_add_u32_e32 v2, v2, v0
	v_cmp_gt_i32_e32 vcc, s6, v2
	s_and_saveexec_b64 s[4:5], vcc
	s_xor_b64 s[4:5], exec, s[4:5]
	s_cbranch_execz .LBB6_74
; %bb.73:
	v_ashrrev_i32_e32 v3, 31, v2
	flat_store_dword v[22:23], v2
	v_lshlrev_b64 v[2:3], 2, v[2:3]
	v_add_co_u32_e32 v2, vcc, v22, v2
	v_mov_b32_e32 v1, 0
	v_addc_co_u32_e32 v3, vcc, v23, v3, vcc
	v_lshlrev_b64 v[0:1], 2, v[0:1]
	v_sub_co_u32_e32 v0, vcc, v2, v0
	v_subb_co_u32_e32 v1, vcc, v3, v1, vcc
	v_add_co_u32_e32 v54, vcc, 4, v0
	s_mov_b64 s[42:43], exec
	v_addc_co_u32_e32 v55, vcc, 0, v1, vcc
.LBB6_74:
	s_or_saveexec_b64 s[38:39], s[4:5]
	s_mov_b64 s[4:5], s[28:29]
	s_xor_b64 exec, exec, s[38:39]
	s_cbranch_execz .LBB6_229
; %bb.75:
	s_load_dwordx2 s[6:7], s[48:49], 0x50
	v_mbcnt_lo_u32_b32 v0, -1, 0
	v_mbcnt_hi_u32_b32 v31, -1, v0
	v_accvgpr_write_b32 a4, v24
	v_accvgpr_write_b32 a2, v22
	;; [unrolled: 1-line block ×3, first 2 shown]
	v_readfirstlane_b32 s4, v31
	v_accvgpr_write_b32 a5, v25
	v_accvgpr_write_b32 a3, v23
	;; [unrolled: 1-line block ×3, first 2 shown]
	v_cmp_eq_u32_e64 s[4:5], s4, v31
	v_pk_mov_b32 v[6:7], 0, 0
	s_and_saveexec_b64 s[8:9], s[4:5]
	s_cbranch_execz .LBB6_81
; %bb.76:
	v_mov_b32_e32 v0, 0
	s_waitcnt lgkmcnt(0)
	global_load_dwordx2 v[4:5], v0, s[6:7] offset:24 glc
	s_waitcnt vmcnt(0)
	buffer_invl2
	buffer_wbinvl1_vol
	global_load_dwordx2 v[2:3], v0, s[6:7] offset:40
	global_load_dwordx2 v[6:7], v0, s[6:7]
	s_waitcnt vmcnt(1)
	v_and_b32_e32 v1, v2, v4
	v_and_b32_e32 v2, v3, v5
	v_mul_lo_u32 v2, v2, 24
	v_mul_hi_u32 v3, v1, 24
	v_mul_lo_u32 v1, v1, 24
	v_add_u32_e32 v3, v3, v2
	s_waitcnt vmcnt(0)
	v_add_co_u32_e32 v2, vcc, v6, v1
	v_addc_co_u32_e32 v3, vcc, v7, v3, vcc
	global_load_dwordx2 v[2:3], v[2:3], off glc
	s_waitcnt vmcnt(0)
	global_atomic_cmpswap_x2 v[6:7], v0, v[2:5], s[6:7] offset:24 glc
	s_waitcnt vmcnt(0)
	buffer_invl2
	buffer_wbinvl1_vol
	v_cmp_ne_u64_e32 vcc, v[6:7], v[4:5]
	s_and_saveexec_b64 s[10:11], vcc
	s_cbranch_execz .LBB6_80
; %bb.77:
	s_mov_b64 s[12:13], 0
.LBB6_78:                               ; =>This Inner Loop Header: Depth=1
	s_sleep 1
	global_load_dwordx2 v[2:3], v0, s[6:7] offset:40
	global_load_dwordx2 v[8:9], v0, s[6:7]
	v_pk_mov_b32 v[4:5], v[6:7], v[6:7] op_sel:[0,1]
	s_waitcnt vmcnt(1)
	v_and_b32_e32 v2, v2, v4
	v_and_b32_e32 v1, v3, v5
	s_waitcnt vmcnt(0)
	v_mad_u64_u32 v[2:3], s[14:15], v2, 24, v[8:9]
	v_mov_b32_e32 v6, v3
	v_mad_u64_u32 v[6:7], s[14:15], v1, 24, v[6:7]
	v_mov_b32_e32 v3, v6
	global_load_dwordx2 v[2:3], v[2:3], off glc
	s_waitcnt vmcnt(0)
	global_atomic_cmpswap_x2 v[6:7], v0, v[2:5], s[6:7] offset:24 glc
	s_waitcnt vmcnt(0)
	buffer_invl2
	buffer_wbinvl1_vol
	v_cmp_eq_u64_e32 vcc, v[6:7], v[4:5]
	s_or_b64 s[12:13], vcc, s[12:13]
	s_andn2_b64 exec, exec, s[12:13]
	s_cbranch_execnz .LBB6_78
; %bb.79:
	s_or_b64 exec, exec, s[12:13]
.LBB6_80:
	s_or_b64 exec, exec, s[10:11]
.LBB6_81:
	s_or_b64 exec, exec, s[8:9]
	v_mov_b32_e32 v5, 0
	s_waitcnt lgkmcnt(0)
	global_load_dwordx2 v[8:9], v5, s[6:7] offset:40
	global_load_dwordx4 v[0:3], v5, s[6:7]
	v_readfirstlane_b32 s8, v6
	v_readfirstlane_b32 s9, v7
	s_mov_b64 s[10:11], exec
	s_waitcnt vmcnt(0)
	v_readfirstlane_b32 s12, v8
	v_readfirstlane_b32 s13, v9
	s_and_b64 s[12:13], s[8:9], s[12:13]
	s_mul_i32 s14, s13, 24
	s_mul_hi_u32 s15, s12, 24
	s_mul_i32 s16, s12, 24
	s_add_i32 s14, s15, s14
	v_mov_b32_e32 v4, s14
	v_add_co_u32_e32 v8, vcc, s16, v0
	v_addc_co_u32_e32 v9, vcc, v1, v4, vcc
	s_and_saveexec_b64 s[14:15], s[4:5]
	s_cbranch_execz .LBB6_83
; %bb.82:
	v_pk_mov_b32 v[10:11], s[10:11], s[10:11] op_sel:[0,1]
	v_mov_b32_e32 v12, 2
	v_mov_b32_e32 v13, 1
	global_store_dwordx4 v[8:9], v[10:13], off offset:8
.LBB6_83:
	s_or_b64 exec, exec, s[14:15]
	s_lshl_b64 s[10:11], s[12:13], 12
	v_mov_b32_e32 v4, s11
	v_add_co_u32_e32 v2, vcc, s10, v2
	v_addc_co_u32_e32 v3, vcc, v3, v4, vcc
	s_mov_b32 s12, 0
	v_lshlrev_b32_e32 v30, 6, v31
	v_add_co_u32_e32 v10, vcc, v2, v30
	v_mov_b32_e32 v4, 33
	v_mov_b32_e32 v6, v5
	v_mov_b32_e32 v7, v5
	v_readfirstlane_b32 s10, v2
	v_readfirstlane_b32 s11, v3
	s_mov_b32 s13, s12
	v_addc_co_u32_e32 v11, vcc, 0, v3, vcc
	s_mov_b32 s14, s12
	s_mov_b32 s15, s12
	s_nop 0
	global_store_dwordx4 v30, v[4:7], s[10:11]
	v_pk_mov_b32 v[2:3], s[12:13], s[12:13] op_sel:[0,1]
	v_pk_mov_b32 v[4:5], s[14:15], s[14:15] op_sel:[0,1]
	global_store_dwordx4 v30, v[2:5], s[10:11] offset:16
	global_store_dwordx4 v30, v[2:5], s[10:11] offset:32
	global_store_dwordx4 v30, v[2:5], s[10:11] offset:48
	s_and_saveexec_b64 s[10:11], s[4:5]
	s_cbranch_execz .LBB6_91
; %bb.84:
	v_mov_b32_e32 v6, 0
	global_load_dwordx2 v[14:15], v6, s[6:7] offset:32 glc
	global_load_dwordx2 v[2:3], v6, s[6:7] offset:40
	v_mov_b32_e32 v12, s8
	v_mov_b32_e32 v13, s9
	s_waitcnt vmcnt(0)
	v_and_b32_e32 v2, s8, v2
	v_and_b32_e32 v3, s9, v3
	v_mul_lo_u32 v3, v3, 24
	v_mul_hi_u32 v4, v2, 24
	v_mul_lo_u32 v2, v2, 24
	v_add_u32_e32 v3, v4, v3
	v_add_co_u32_e32 v4, vcc, v0, v2
	v_addc_co_u32_e32 v5, vcc, v1, v3, vcc
	global_store_dwordx2 v[4:5], v[14:15], off
	buffer_wbl2
	s_waitcnt vmcnt(0)
	global_atomic_cmpswap_x2 v[2:3], v6, v[12:15], s[6:7] offset:32 glc
	s_waitcnt vmcnt(0)
	v_cmp_ne_u64_e32 vcc, v[2:3], v[14:15]
	s_and_saveexec_b64 s[12:13], vcc
	s_cbranch_execz .LBB6_87
; %bb.85:
	s_mov_b64 s[14:15], 0
.LBB6_86:                               ; =>This Inner Loop Header: Depth=1
	s_sleep 1
	global_store_dwordx2 v[4:5], v[2:3], off
	v_mov_b32_e32 v0, s8
	v_mov_b32_e32 v1, s9
	buffer_wbl2
	s_waitcnt vmcnt(0)
	global_atomic_cmpswap_x2 v[0:1], v6, v[0:3], s[6:7] offset:32 glc
	s_waitcnt vmcnt(0)
	v_cmp_eq_u64_e32 vcc, v[0:1], v[2:3]
	s_or_b64 s[14:15], vcc, s[14:15]
	v_pk_mov_b32 v[2:3], v[0:1], v[0:1] op_sel:[0,1]
	s_andn2_b64 exec, exec, s[14:15]
	s_cbranch_execnz .LBB6_86
.LBB6_87:
	s_or_b64 exec, exec, s[12:13]
	v_mov_b32_e32 v3, 0
	global_load_dwordx2 v[0:1], v3, s[6:7] offset:16
	s_mov_b64 s[12:13], exec
	v_mbcnt_lo_u32_b32 v2, s12, 0
	v_mbcnt_hi_u32_b32 v2, s13, v2
	v_cmp_eq_u32_e32 vcc, 0, v2
	s_and_saveexec_b64 s[14:15], vcc
	s_cbranch_execz .LBB6_89
; %bb.88:
	s_bcnt1_i32_b64 s12, s[12:13]
	v_mov_b32_e32 v2, s12
	buffer_wbl2
	s_waitcnt vmcnt(0)
	global_atomic_add_x2 v[0:1], v[2:3], off offset:8
.LBB6_89:
	s_or_b64 exec, exec, s[14:15]
	s_waitcnt vmcnt(0)
	global_load_dwordx2 v[2:3], v[0:1], off offset:16
	s_waitcnt vmcnt(0)
	v_cmp_eq_u64_e32 vcc, 0, v[2:3]
	s_cbranch_vccnz .LBB6_91
; %bb.90:
	global_load_dword v0, v[0:1], off offset:24
	v_mov_b32_e32 v1, 0
	buffer_wbl2
	s_waitcnt vmcnt(0)
	global_store_dwordx2 v[2:3], v[0:1], off
	v_and_b32_e32 v0, 0xffffff, v0
	v_readfirstlane_b32 m0, v0
	s_sendmsg sendmsg(MSG_INTERRUPT)
.LBB6_91:
	s_or_b64 exec, exec, s[10:11]
	s_branch .LBB6_93
.LBB6_92:
	s_branch .LBB6_97
.LBB6_93:                               ; =>This Inner Loop Header: Depth=1
	v_mov_b32_e32 v0, 1
	s_and_saveexec_b64 s[10:11], s[4:5]
	s_cbranch_execz .LBB6_95
; %bb.94:                               ;   in Loop: Header=BB6_93 Depth=1
	global_load_dword v0, v[8:9], off offset:20 glc
	s_waitcnt vmcnt(0)
	buffer_invl2
	buffer_wbinvl1_vol
	v_and_b32_e32 v0, 1, v0
.LBB6_95:                               ;   in Loop: Header=BB6_93 Depth=1
	s_or_b64 exec, exec, s[10:11]
	v_readfirstlane_b32 s10, v0
	s_cmp_eq_u32 s10, 0
	s_cbranch_scc1 .LBB6_92
; %bb.96:                               ;   in Loop: Header=BB6_93 Depth=1
	s_sleep 1
	s_cbranch_execnz .LBB6_93
.LBB6_97:
	global_load_dwordx2 v[0:1], v[10:11], off
	s_and_saveexec_b64 s[10:11], s[4:5]
	s_cbranch_execz .LBB6_100
; %bb.98:
	v_mov_b32_e32 v8, 0
	global_load_dwordx2 v[6:7], v8, s[6:7] offset:40
	global_load_dwordx2 v[10:11], v8, s[6:7] offset:24 glc
	global_load_dwordx2 v[12:13], v8, s[6:7]
	v_mov_b32_e32 v3, s9
	s_mov_b64 s[4:5], 0
	s_waitcnt vmcnt(2)
	v_add_co_u32_e32 v5, vcc, 1, v6
	v_addc_co_u32_e32 v9, vcc, 0, v7, vcc
	v_add_co_u32_e32 v2, vcc, s8, v5
	v_addc_co_u32_e32 v3, vcc, v9, v3, vcc
	v_cmp_eq_u64_e32 vcc, 0, v[2:3]
	v_cndmask_b32_e32 v3, v3, v9, vcc
	v_cndmask_b32_e32 v2, v2, v5, vcc
	v_and_b32_e32 v5, v3, v7
	v_and_b32_e32 v6, v2, v6
	v_mul_lo_u32 v5, v5, 24
	v_mul_hi_u32 v7, v6, 24
	v_mul_lo_u32 v6, v6, 24
	v_add_u32_e32 v5, v7, v5
	s_waitcnt vmcnt(0)
	v_add_co_u32_e32 v6, vcc, v12, v6
	v_addc_co_u32_e32 v7, vcc, v13, v5, vcc
	v_mov_b32_e32 v4, v10
	global_store_dwordx2 v[6:7], v[10:11], off
	v_mov_b32_e32 v5, v11
	buffer_wbl2
	s_waitcnt vmcnt(0)
	global_atomic_cmpswap_x2 v[4:5], v8, v[2:5], s[6:7] offset:24 glc
	s_waitcnt vmcnt(0)
	v_cmp_ne_u64_e32 vcc, v[4:5], v[10:11]
	s_and_b64 exec, exec, vcc
	s_cbranch_execz .LBB6_100
.LBB6_99:                               ; =>This Inner Loop Header: Depth=1
	s_sleep 1
	global_store_dwordx2 v[6:7], v[4:5], off
	buffer_wbl2
	s_waitcnt vmcnt(0)
	global_atomic_cmpswap_x2 v[10:11], v8, v[2:5], s[6:7] offset:24 glc
	s_waitcnt vmcnt(0)
	v_cmp_eq_u64_e32 vcc, v[10:11], v[4:5]
	s_or_b64 s[4:5], vcc, s[4:5]
	v_pk_mov_b32 v[4:5], v[10:11], v[10:11] op_sel:[0,1]
	s_andn2_b64 exec, exec, s[4:5]
	s_cbranch_execnz .LBB6_99
.LBB6_100:
	s_or_b64 exec, exec, s[10:11]
	s_getpc_b64 s[8:9]
	s_add_u32 s8, s8, .str.28@rel32@lo+4
	s_addc_u32 s9, s9, .str.28@rel32@hi+12
	s_cmp_lg_u64 s[8:9], 0
	s_cbranch_scc0 .LBB6_200
; %bb.101:
	s_waitcnt vmcnt(0)
	v_and_b32_e32 v6, -3, v0
	v_mov_b32_e32 v7, v1
	s_mov_b64 s[10:11], 35
	v_mov_b32_e32 v27, 0
	v_mov_b32_e32 v4, 2
	;; [unrolled: 1-line block ×3, first 2 shown]
	s_branch .LBB6_103
.LBB6_102:                              ;   in Loop: Header=BB6_103 Depth=1
	s_or_b64 exec, exec, s[16:17]
	s_sub_u32 s10, s10, s12
	s_subb_u32 s11, s11, s13
	s_add_u32 s8, s8, s12
	s_addc_u32 s9, s9, s13
	s_cmp_lg_u64 s[10:11], 0
	s_cbranch_scc0 .LBB6_199
.LBB6_103:                              ; =>This Loop Header: Depth=1
                                        ;     Child Loop BB6_106 Depth 2
                                        ;     Child Loop BB6_114 Depth 2
	;; [unrolled: 1-line block ×11, first 2 shown]
	v_cmp_lt_u64_e64 s[4:5], s[10:11], 56
	s_and_b64 s[4:5], s[4:5], exec
	v_cmp_gt_u64_e64 s[4:5], s[10:11], 7
	s_cselect_b32 s13, s11, 0
	s_cselect_b32 s12, s10, 56
	s_and_b64 vcc, exec, s[4:5]
	s_cbranch_vccnz .LBB6_108
; %bb.104:                              ;   in Loop: Header=BB6_103 Depth=1
	s_mov_b64 s[4:5], 0
	s_cmp_eq_u64 s[10:11], 0
	s_waitcnt vmcnt(0)
	v_pk_mov_b32 v[8:9], 0, 0
	s_cbranch_scc1 .LBB6_107
; %bb.105:                              ;   in Loop: Header=BB6_103 Depth=1
	s_lshl_b64 s[14:15], s[12:13], 3
	s_mov_b64 s[16:17], 0
	v_pk_mov_b32 v[8:9], 0, 0
	s_mov_b64 s[18:19], s[8:9]
.LBB6_106:                              ;   Parent Loop BB6_103 Depth=1
                                        ; =>  This Inner Loop Header: Depth=2
	global_load_ubyte v2, v27, s[18:19]
	s_waitcnt vmcnt(0)
	v_and_b32_e32 v26, 0xffff, v2
	v_lshlrev_b64 v[2:3], s16, v[26:27]
	s_add_u32 s16, s16, 8
	s_addc_u32 s17, s17, 0
	s_add_u32 s18, s18, 1
	s_addc_u32 s19, s19, 0
	v_or_b32_e32 v8, v2, v8
	s_cmp_lg_u32 s14, s16
	v_or_b32_e32 v9, v3, v9
	s_cbranch_scc1 .LBB6_106
.LBB6_107:                              ;   in Loop: Header=BB6_103 Depth=1
	s_mov_b32 s18, 0
	s_branch .LBB6_109
.LBB6_108:                              ;   in Loop: Header=BB6_103 Depth=1
	s_mov_b64 s[4:5], -1
                                        ; implicit-def: $sgpr18
.LBB6_109:                              ;   in Loop: Header=BB6_103 Depth=1
	s_andn2_b64 vcc, exec, s[4:5]
	s_mov_b64 s[4:5], s[8:9]
	s_cbranch_vccnz .LBB6_111
; %bb.110:                              ;   in Loop: Header=BB6_103 Depth=1
	global_load_dwordx2 v[8:9], v27, s[8:9]
	s_add_i32 s18, s12, -8
	s_add_u32 s4, s8, 8
	s_addc_u32 s5, s9, 0
.LBB6_111:                              ;   in Loop: Header=BB6_103 Depth=1
	s_cmp_gt_u32 s18, 7
	s_cbranch_scc1 .LBB6_115
; %bb.112:                              ;   in Loop: Header=BB6_103 Depth=1
	s_cmp_eq_u32 s18, 0
	s_cbranch_scc1 .LBB6_116
; %bb.113:                              ;   in Loop: Header=BB6_103 Depth=1
	s_mov_b64 s[14:15], 0
	v_pk_mov_b32 v[10:11], 0, 0
	s_mov_b64 s[16:17], 0
.LBB6_114:                              ;   Parent Loop BB6_103 Depth=1
                                        ; =>  This Inner Loop Header: Depth=2
	s_add_u32 s20, s4, s16
	s_addc_u32 s21, s5, s17
	global_load_ubyte v2, v27, s[20:21]
	s_add_u32 s16, s16, 1
	s_addc_u32 s17, s17, 0
	s_waitcnt vmcnt(0)
	v_and_b32_e32 v26, 0xffff, v2
	v_lshlrev_b64 v[2:3], s14, v[26:27]
	s_add_u32 s14, s14, 8
	s_addc_u32 s15, s15, 0
	v_or_b32_e32 v10, v2, v10
	s_cmp_lg_u32 s18, s16
	v_or_b32_e32 v11, v3, v11
	s_cbranch_scc1 .LBB6_114
	s_branch .LBB6_117
.LBB6_115:                              ;   in Loop: Header=BB6_103 Depth=1
	s_mov_b64 s[14:15], -1
                                        ; implicit-def: $vgpr10_vgpr11
                                        ; implicit-def: $sgpr19
	s_branch .LBB6_118
.LBB6_116:                              ;   in Loop: Header=BB6_103 Depth=1
	v_pk_mov_b32 v[10:11], 0, 0
.LBB6_117:                              ;   in Loop: Header=BB6_103 Depth=1
	s_mov_b64 s[14:15], 0
	s_mov_b32 s19, 0
.LBB6_118:                              ;   in Loop: Header=BB6_103 Depth=1
	s_andn2_b64 vcc, exec, s[14:15]
	s_cbranch_vccnz .LBB6_120
; %bb.119:                              ;   in Loop: Header=BB6_103 Depth=1
	global_load_dwordx2 v[10:11], v27, s[4:5]
	s_add_i32 s19, s18, -8
	s_add_u32 s4, s4, 8
	s_addc_u32 s5, s5, 0
.LBB6_120:                              ;   in Loop: Header=BB6_103 Depth=1
	s_cmp_gt_u32 s19, 7
	s_cbranch_scc1 .LBB6_124
; %bb.121:                              ;   in Loop: Header=BB6_103 Depth=1
	s_cmp_eq_u32 s19, 0
	s_cbranch_scc1 .LBB6_125
; %bb.122:                              ;   in Loop: Header=BB6_103 Depth=1
	s_mov_b64 s[14:15], 0
	v_pk_mov_b32 v[12:13], 0, 0
	s_mov_b64 s[16:17], 0
.LBB6_123:                              ;   Parent Loop BB6_103 Depth=1
                                        ; =>  This Inner Loop Header: Depth=2
	s_add_u32 s20, s4, s16
	s_addc_u32 s21, s5, s17
	global_load_ubyte v2, v27, s[20:21]
	s_add_u32 s16, s16, 1
	s_addc_u32 s17, s17, 0
	s_waitcnt vmcnt(0)
	v_and_b32_e32 v26, 0xffff, v2
	v_lshlrev_b64 v[2:3], s14, v[26:27]
	s_add_u32 s14, s14, 8
	s_addc_u32 s15, s15, 0
	v_or_b32_e32 v12, v2, v12
	s_cmp_lg_u32 s19, s16
	v_or_b32_e32 v13, v3, v13
	s_cbranch_scc1 .LBB6_123
	s_branch .LBB6_126
.LBB6_124:                              ;   in Loop: Header=BB6_103 Depth=1
	s_mov_b64 s[14:15], -1
                                        ; implicit-def: $sgpr18
	s_branch .LBB6_127
.LBB6_125:                              ;   in Loop: Header=BB6_103 Depth=1
	v_pk_mov_b32 v[12:13], 0, 0
.LBB6_126:                              ;   in Loop: Header=BB6_103 Depth=1
	s_mov_b64 s[14:15], 0
	s_mov_b32 s18, 0
.LBB6_127:                              ;   in Loop: Header=BB6_103 Depth=1
	s_andn2_b64 vcc, exec, s[14:15]
	s_cbranch_vccnz .LBB6_129
; %bb.128:                              ;   in Loop: Header=BB6_103 Depth=1
	global_load_dwordx2 v[12:13], v27, s[4:5]
	s_add_i32 s18, s19, -8
	s_add_u32 s4, s4, 8
	s_addc_u32 s5, s5, 0
.LBB6_129:                              ;   in Loop: Header=BB6_103 Depth=1
	s_cmp_gt_u32 s18, 7
	s_cbranch_scc1 .LBB6_133
; %bb.130:                              ;   in Loop: Header=BB6_103 Depth=1
	s_cmp_eq_u32 s18, 0
	s_cbranch_scc1 .LBB6_134
; %bb.131:                              ;   in Loop: Header=BB6_103 Depth=1
	s_mov_b64 s[14:15], 0
	v_pk_mov_b32 v[14:15], 0, 0
	s_mov_b64 s[16:17], 0
.LBB6_132:                              ;   Parent Loop BB6_103 Depth=1
                                        ; =>  This Inner Loop Header: Depth=2
	s_add_u32 s20, s4, s16
	s_addc_u32 s21, s5, s17
	global_load_ubyte v2, v27, s[20:21]
	s_add_u32 s16, s16, 1
	s_addc_u32 s17, s17, 0
	s_waitcnt vmcnt(0)
	v_and_b32_e32 v26, 0xffff, v2
	v_lshlrev_b64 v[2:3], s14, v[26:27]
	s_add_u32 s14, s14, 8
	s_addc_u32 s15, s15, 0
	v_or_b32_e32 v14, v2, v14
	s_cmp_lg_u32 s18, s16
	v_or_b32_e32 v15, v3, v15
	s_cbranch_scc1 .LBB6_132
	s_branch .LBB6_135
.LBB6_133:                              ;   in Loop: Header=BB6_103 Depth=1
	s_mov_b64 s[14:15], -1
                                        ; implicit-def: $vgpr14_vgpr15
                                        ; implicit-def: $sgpr19
	s_branch .LBB6_136
.LBB6_134:                              ;   in Loop: Header=BB6_103 Depth=1
	v_pk_mov_b32 v[14:15], 0, 0
.LBB6_135:                              ;   in Loop: Header=BB6_103 Depth=1
	s_mov_b64 s[14:15], 0
	s_mov_b32 s19, 0
.LBB6_136:                              ;   in Loop: Header=BB6_103 Depth=1
	s_andn2_b64 vcc, exec, s[14:15]
	s_cbranch_vccnz .LBB6_138
; %bb.137:                              ;   in Loop: Header=BB6_103 Depth=1
	global_load_dwordx2 v[14:15], v27, s[4:5]
	s_add_i32 s19, s18, -8
	s_add_u32 s4, s4, 8
	s_addc_u32 s5, s5, 0
.LBB6_138:                              ;   in Loop: Header=BB6_103 Depth=1
	s_cmp_gt_u32 s19, 7
	s_cbranch_scc1 .LBB6_142
; %bb.139:                              ;   in Loop: Header=BB6_103 Depth=1
	s_cmp_eq_u32 s19, 0
	s_cbranch_scc1 .LBB6_143
; %bb.140:                              ;   in Loop: Header=BB6_103 Depth=1
	s_mov_b64 s[14:15], 0
	v_pk_mov_b32 v[16:17], 0, 0
	s_mov_b64 s[16:17], 0
.LBB6_141:                              ;   Parent Loop BB6_103 Depth=1
                                        ; =>  This Inner Loop Header: Depth=2
	s_add_u32 s20, s4, s16
	s_addc_u32 s21, s5, s17
	global_load_ubyte v2, v27, s[20:21]
	s_add_u32 s16, s16, 1
	s_addc_u32 s17, s17, 0
	s_waitcnt vmcnt(0)
	v_and_b32_e32 v26, 0xffff, v2
	v_lshlrev_b64 v[2:3], s14, v[26:27]
	s_add_u32 s14, s14, 8
	s_addc_u32 s15, s15, 0
	v_or_b32_e32 v16, v2, v16
	s_cmp_lg_u32 s19, s16
	v_or_b32_e32 v17, v3, v17
	s_cbranch_scc1 .LBB6_141
	s_branch .LBB6_144
.LBB6_142:                              ;   in Loop: Header=BB6_103 Depth=1
	s_mov_b64 s[14:15], -1
                                        ; implicit-def: $sgpr18
	s_branch .LBB6_145
.LBB6_143:                              ;   in Loop: Header=BB6_103 Depth=1
	v_pk_mov_b32 v[16:17], 0, 0
.LBB6_144:                              ;   in Loop: Header=BB6_103 Depth=1
	s_mov_b64 s[14:15], 0
	s_mov_b32 s18, 0
.LBB6_145:                              ;   in Loop: Header=BB6_103 Depth=1
	s_andn2_b64 vcc, exec, s[14:15]
	s_cbranch_vccnz .LBB6_147
; %bb.146:                              ;   in Loop: Header=BB6_103 Depth=1
	global_load_dwordx2 v[16:17], v27, s[4:5]
	s_add_i32 s18, s19, -8
	s_add_u32 s4, s4, 8
	s_addc_u32 s5, s5, 0
.LBB6_147:                              ;   in Loop: Header=BB6_103 Depth=1
	s_cmp_gt_u32 s18, 7
	s_cbranch_scc1 .LBB6_151
; %bb.148:                              ;   in Loop: Header=BB6_103 Depth=1
	s_cmp_eq_u32 s18, 0
	s_cbranch_scc1 .LBB6_152
; %bb.149:                              ;   in Loop: Header=BB6_103 Depth=1
	s_mov_b64 s[14:15], 0
	v_pk_mov_b32 v[18:19], 0, 0
	s_mov_b64 s[16:17], 0
.LBB6_150:                              ;   Parent Loop BB6_103 Depth=1
                                        ; =>  This Inner Loop Header: Depth=2
	s_add_u32 s20, s4, s16
	s_addc_u32 s21, s5, s17
	global_load_ubyte v2, v27, s[20:21]
	s_add_u32 s16, s16, 1
	s_addc_u32 s17, s17, 0
	s_waitcnt vmcnt(0)
	v_and_b32_e32 v26, 0xffff, v2
	v_lshlrev_b64 v[2:3], s14, v[26:27]
	s_add_u32 s14, s14, 8
	s_addc_u32 s15, s15, 0
	v_or_b32_e32 v18, v2, v18
	s_cmp_lg_u32 s18, s16
	v_or_b32_e32 v19, v3, v19
	s_cbranch_scc1 .LBB6_150
	s_branch .LBB6_153
.LBB6_151:                              ;   in Loop: Header=BB6_103 Depth=1
	s_mov_b64 s[14:15], -1
                                        ; implicit-def: $vgpr18_vgpr19
                                        ; implicit-def: $sgpr19
	s_branch .LBB6_154
.LBB6_152:                              ;   in Loop: Header=BB6_103 Depth=1
	v_pk_mov_b32 v[18:19], 0, 0
.LBB6_153:                              ;   in Loop: Header=BB6_103 Depth=1
	s_mov_b64 s[14:15], 0
	s_mov_b32 s19, 0
.LBB6_154:                              ;   in Loop: Header=BB6_103 Depth=1
	s_andn2_b64 vcc, exec, s[14:15]
	s_cbranch_vccnz .LBB6_156
; %bb.155:                              ;   in Loop: Header=BB6_103 Depth=1
	global_load_dwordx2 v[18:19], v27, s[4:5]
	s_add_i32 s19, s18, -8
	s_add_u32 s4, s4, 8
	s_addc_u32 s5, s5, 0
.LBB6_156:                              ;   in Loop: Header=BB6_103 Depth=1
	s_cmp_gt_u32 s19, 7
	s_cbranch_scc1 .LBB6_160
; %bb.157:                              ;   in Loop: Header=BB6_103 Depth=1
	s_cmp_eq_u32 s19, 0
	s_cbranch_scc1 .LBB6_161
; %bb.158:                              ;   in Loop: Header=BB6_103 Depth=1
	s_mov_b64 s[14:15], 0
	v_pk_mov_b32 v[20:21], 0, 0
	s_mov_b64 s[16:17], s[4:5]
.LBB6_159:                              ;   Parent Loop BB6_103 Depth=1
                                        ; =>  This Inner Loop Header: Depth=2
	global_load_ubyte v2, v27, s[16:17]
	s_add_i32 s19, s19, -1
	s_waitcnt vmcnt(0)
	v_and_b32_e32 v26, 0xffff, v2
	v_lshlrev_b64 v[2:3], s14, v[26:27]
	s_add_u32 s14, s14, 8
	s_addc_u32 s15, s15, 0
	s_add_u32 s16, s16, 1
	s_addc_u32 s17, s17, 0
	v_or_b32_e32 v20, v2, v20
	s_cmp_lg_u32 s19, 0
	v_or_b32_e32 v21, v3, v21
	s_cbranch_scc1 .LBB6_159
	s_branch .LBB6_162
.LBB6_160:                              ;   in Loop: Header=BB6_103 Depth=1
	s_mov_b64 s[14:15], -1
	s_branch .LBB6_163
.LBB6_161:                              ;   in Loop: Header=BB6_103 Depth=1
	v_pk_mov_b32 v[20:21], 0, 0
.LBB6_162:                              ;   in Loop: Header=BB6_103 Depth=1
	s_mov_b64 s[14:15], 0
.LBB6_163:                              ;   in Loop: Header=BB6_103 Depth=1
	s_andn2_b64 vcc, exec, s[14:15]
	s_cbranch_vccnz .LBB6_165
; %bb.164:                              ;   in Loop: Header=BB6_103 Depth=1
	global_load_dwordx2 v[20:21], v27, s[4:5]
.LBB6_165:                              ;   in Loop: Header=BB6_103 Depth=1
	v_readfirstlane_b32 s4, v31
	v_cmp_eq_u32_e64 s[4:5], s4, v31
	v_pk_mov_b32 v[2:3], 0, 0
	s_and_saveexec_b64 s[14:15], s[4:5]
	s_cbranch_execz .LBB6_171
; %bb.166:                              ;   in Loop: Header=BB6_103 Depth=1
	global_load_dwordx2 v[24:25], v27, s[6:7] offset:24 glc
	s_waitcnt vmcnt(0)
	buffer_invl2
	buffer_wbinvl1_vol
	global_load_dwordx2 v[2:3], v27, s[6:7] offset:40
	global_load_dwordx2 v[22:23], v27, s[6:7]
	s_waitcnt vmcnt(1)
	v_and_b32_e32 v2, v2, v24
	v_and_b32_e32 v3, v3, v25
	v_mul_lo_u32 v3, v3, 24
	v_mul_hi_u32 v26, v2, 24
	v_mul_lo_u32 v2, v2, 24
	v_add_u32_e32 v3, v26, v3
	s_waitcnt vmcnt(0)
	v_add_co_u32_e32 v2, vcc, v22, v2
	v_addc_co_u32_e32 v3, vcc, v23, v3, vcc
	global_load_dwordx2 v[22:23], v[2:3], off glc
	s_waitcnt vmcnt(0)
	global_atomic_cmpswap_x2 v[2:3], v27, v[22:25], s[6:7] offset:24 glc
	s_waitcnt vmcnt(0)
	buffer_invl2
	buffer_wbinvl1_vol
	v_cmp_ne_u64_e32 vcc, v[2:3], v[24:25]
	s_and_saveexec_b64 s[16:17], vcc
	s_cbranch_execz .LBB6_170
; %bb.167:                              ;   in Loop: Header=BB6_103 Depth=1
	s_mov_b64 s[18:19], 0
.LBB6_168:                              ;   Parent Loop BB6_103 Depth=1
                                        ; =>  This Inner Loop Header: Depth=2
	s_sleep 1
	global_load_dwordx2 v[22:23], v27, s[6:7] offset:40
	global_load_dwordx2 v[28:29], v27, s[6:7]
	v_pk_mov_b32 v[24:25], v[2:3], v[2:3] op_sel:[0,1]
	s_waitcnt vmcnt(1)
	v_and_b32_e32 v2, v22, v24
	s_waitcnt vmcnt(0)
	v_mad_u64_u32 v[2:3], s[20:21], v2, 24, v[28:29]
	v_and_b32_e32 v23, v23, v25
	v_mov_b32_e32 v22, v3
	v_mad_u64_u32 v[22:23], s[20:21], v23, 24, v[22:23]
	v_mov_b32_e32 v3, v22
	global_load_dwordx2 v[22:23], v[2:3], off glc
	s_waitcnt vmcnt(0)
	global_atomic_cmpswap_x2 v[2:3], v27, v[22:25], s[6:7] offset:24 glc
	s_waitcnt vmcnt(0)
	buffer_invl2
	buffer_wbinvl1_vol
	v_cmp_eq_u64_e32 vcc, v[2:3], v[24:25]
	s_or_b64 s[18:19], vcc, s[18:19]
	s_andn2_b64 exec, exec, s[18:19]
	s_cbranch_execnz .LBB6_168
; %bb.169:                              ;   in Loop: Header=BB6_103 Depth=1
	s_or_b64 exec, exec, s[18:19]
.LBB6_170:                              ;   in Loop: Header=BB6_103 Depth=1
	s_or_b64 exec, exec, s[16:17]
.LBB6_171:                              ;   in Loop: Header=BB6_103 Depth=1
	s_or_b64 exec, exec, s[14:15]
	global_load_dwordx2 v[28:29], v27, s[6:7] offset:40
	global_load_dwordx4 v[22:25], v27, s[6:7]
	v_readfirstlane_b32 s14, v2
	v_readfirstlane_b32 s15, v3
	s_mov_b64 s[16:17], exec
	s_waitcnt vmcnt(1)
	v_readfirstlane_b32 s18, v28
	v_readfirstlane_b32 s19, v29
	s_and_b64 s[18:19], s[14:15], s[18:19]
	s_mul_i32 s20, s19, 24
	s_mul_hi_u32 s21, s18, 24
	s_mul_i32 s22, s18, 24
	s_add_i32 s20, s21, s20
	v_mov_b32_e32 v2, s20
	s_waitcnt vmcnt(0)
	v_add_co_u32_e32 v28, vcc, s22, v22
	v_addc_co_u32_e32 v29, vcc, v23, v2, vcc
	s_and_saveexec_b64 s[20:21], s[4:5]
	s_cbranch_execz .LBB6_173
; %bb.172:                              ;   in Loop: Header=BB6_103 Depth=1
	v_pk_mov_b32 v[2:3], s[16:17], s[16:17] op_sel:[0,1]
	global_store_dwordx4 v[28:29], v[2:5], off offset:8
.LBB6_173:                              ;   in Loop: Header=BB6_103 Depth=1
	s_or_b64 exec, exec, s[20:21]
	s_lshl_b64 s[16:17], s[18:19], 12
	v_mov_b32_e32 v3, s17
	v_add_co_u32_e32 v2, vcc, s16, v24
	v_addc_co_u32_e32 v3, vcc, v25, v3, vcc
	v_or_b32_e32 v24, 2, v6
	v_cmp_gt_u64_e64 vcc, s[10:11], 56
	s_lshl_b32 s16, s12, 2
	v_cndmask_b32_e32 v6, v24, v6, vcc
	s_add_i32 s16, s16, 28
	s_and_b32 s16, s16, 0x1e0
	v_and_b32_e32 v6, 0xffffff1f, v6
	v_or_b32_e32 v6, s16, v6
	v_readfirstlane_b32 s16, v2
	v_readfirstlane_b32 s17, v3
	s_nop 4
	global_store_dwordx4 v30, v[6:9], s[16:17]
	global_store_dwordx4 v30, v[10:13], s[16:17] offset:16
	global_store_dwordx4 v30, v[14:17], s[16:17] offset:32
	;; [unrolled: 1-line block ×3, first 2 shown]
	s_and_saveexec_b64 s[16:17], s[4:5]
	s_cbranch_execz .LBB6_181
; %bb.174:                              ;   in Loop: Header=BB6_103 Depth=1
	global_load_dwordx2 v[14:15], v27, s[6:7] offset:32 glc
	global_load_dwordx2 v[6:7], v27, s[6:7] offset:40
	v_mov_b32_e32 v12, s14
	v_mov_b32_e32 v13, s15
	s_waitcnt vmcnt(0)
	v_readfirstlane_b32 s18, v6
	v_readfirstlane_b32 s19, v7
	s_and_b64 s[18:19], s[18:19], s[14:15]
	s_mul_i32 s19, s19, 24
	s_mul_hi_u32 s20, s18, 24
	s_mul_i32 s18, s18, 24
	s_add_i32 s19, s20, s19
	v_mov_b32_e32 v6, s19
	v_add_co_u32_e32 v10, vcc, s18, v22
	v_addc_co_u32_e32 v11, vcc, v23, v6, vcc
	global_store_dwordx2 v[10:11], v[14:15], off
	buffer_wbl2
	s_waitcnt vmcnt(0)
	global_atomic_cmpswap_x2 v[8:9], v27, v[12:15], s[6:7] offset:32 glc
	s_waitcnt vmcnt(0)
	v_cmp_ne_u64_e32 vcc, v[8:9], v[14:15]
	s_and_saveexec_b64 s[18:19], vcc
	s_cbranch_execz .LBB6_177
; %bb.175:                              ;   in Loop: Header=BB6_103 Depth=1
	s_mov_b64 s[20:21], 0
.LBB6_176:                              ;   Parent Loop BB6_103 Depth=1
                                        ; =>  This Inner Loop Header: Depth=2
	s_sleep 1
	global_store_dwordx2 v[10:11], v[8:9], off
	v_mov_b32_e32 v6, s14
	v_mov_b32_e32 v7, s15
	buffer_wbl2
	s_waitcnt vmcnt(0)
	global_atomic_cmpswap_x2 v[6:7], v27, v[6:9], s[6:7] offset:32 glc
	s_waitcnt vmcnt(0)
	v_cmp_eq_u64_e32 vcc, v[6:7], v[8:9]
	s_or_b64 s[20:21], vcc, s[20:21]
	v_pk_mov_b32 v[8:9], v[6:7], v[6:7] op_sel:[0,1]
	s_andn2_b64 exec, exec, s[20:21]
	s_cbranch_execnz .LBB6_176
.LBB6_177:                              ;   in Loop: Header=BB6_103 Depth=1
	s_or_b64 exec, exec, s[18:19]
	global_load_dwordx2 v[6:7], v27, s[6:7] offset:16
	s_mov_b64 s[20:21], exec
	v_mbcnt_lo_u32_b32 v8, s20, 0
	v_mbcnt_hi_u32_b32 v8, s21, v8
	v_cmp_eq_u32_e32 vcc, 0, v8
	s_and_saveexec_b64 s[18:19], vcc
	s_cbranch_execz .LBB6_179
; %bb.178:                              ;   in Loop: Header=BB6_103 Depth=1
	s_bcnt1_i32_b64 s20, s[20:21]
	v_mov_b32_e32 v26, s20
	buffer_wbl2
	s_waitcnt vmcnt(0)
	global_atomic_add_x2 v[6:7], v[26:27], off offset:8
.LBB6_179:                              ;   in Loop: Header=BB6_103 Depth=1
	s_or_b64 exec, exec, s[18:19]
	s_waitcnt vmcnt(0)
	global_load_dwordx2 v[8:9], v[6:7], off offset:16
	s_waitcnt vmcnt(0)
	v_cmp_eq_u64_e32 vcc, 0, v[8:9]
	s_cbranch_vccnz .LBB6_181
; %bb.180:                              ;   in Loop: Header=BB6_103 Depth=1
	global_load_dword v26, v[6:7], off offset:24
	s_waitcnt vmcnt(0)
	v_and_b32_e32 v6, 0xffffff, v26
	v_readfirstlane_b32 m0, v6
	buffer_wbl2
	global_store_dwordx2 v[8:9], v[26:27], off
	s_sendmsg sendmsg(MSG_INTERRUPT)
.LBB6_181:                              ;   in Loop: Header=BB6_103 Depth=1
	s_or_b64 exec, exec, s[16:17]
	v_add_co_u32_e32 v2, vcc, v2, v30
	v_addc_co_u32_e32 v3, vcc, 0, v3, vcc
	s_branch .LBB6_183
.LBB6_182:                              ;   in Loop: Header=BB6_103 Depth=1
	s_branch .LBB6_187
.LBB6_183:                              ;   Parent Loop BB6_103 Depth=1
                                        ; =>  This Inner Loop Header: Depth=2
	v_mov_b32_e32 v6, 1
	s_and_saveexec_b64 s[16:17], s[4:5]
	s_cbranch_execz .LBB6_185
; %bb.184:                              ;   in Loop: Header=BB6_183 Depth=2
	global_load_dword v6, v[28:29], off offset:20 glc
	s_waitcnt vmcnt(0)
	buffer_invl2
	buffer_wbinvl1_vol
	v_and_b32_e32 v6, 1, v6
.LBB6_185:                              ;   in Loop: Header=BB6_183 Depth=2
	s_or_b64 exec, exec, s[16:17]
	v_readfirstlane_b32 s16, v6
	s_cmp_eq_u32 s16, 0
	s_cbranch_scc1 .LBB6_182
; %bb.186:                              ;   in Loop: Header=BB6_183 Depth=2
	s_sleep 1
	s_cbranch_execnz .LBB6_183
.LBB6_187:                              ;   in Loop: Header=BB6_103 Depth=1
	global_load_dwordx4 v[6:9], v[2:3], off
	s_and_saveexec_b64 s[16:17], s[4:5]
	s_cbranch_execz .LBB6_102
; %bb.188:                              ;   in Loop: Header=BB6_103 Depth=1
	global_load_dwordx2 v[2:3], v27, s[6:7] offset:40
	global_load_dwordx2 v[12:13], v27, s[6:7] offset:24 glc
	global_load_dwordx2 v[14:15], v27, s[6:7]
	s_waitcnt vmcnt(3)
	v_mov_b32_e32 v9, s15
	s_waitcnt vmcnt(2)
	v_add_co_u32_e32 v11, vcc, 1, v2
	v_addc_co_u32_e32 v16, vcc, 0, v3, vcc
	v_add_co_u32_e32 v8, vcc, s14, v11
	v_addc_co_u32_e32 v9, vcc, v16, v9, vcc
	v_cmp_eq_u64_e32 vcc, 0, v[8:9]
	v_cndmask_b32_e32 v9, v9, v16, vcc
	v_cndmask_b32_e32 v8, v8, v11, vcc
	v_and_b32_e32 v3, v9, v3
	v_and_b32_e32 v2, v8, v2
	v_mul_lo_u32 v3, v3, 24
	v_mul_hi_u32 v11, v2, 24
	v_mul_lo_u32 v2, v2, 24
	v_add_u32_e32 v3, v11, v3
	s_waitcnt vmcnt(0)
	v_add_co_u32_e32 v2, vcc, v14, v2
	v_addc_co_u32_e32 v3, vcc, v15, v3, vcc
	v_mov_b32_e32 v10, v12
	global_store_dwordx2 v[2:3], v[12:13], off
	v_mov_b32_e32 v11, v13
	buffer_wbl2
	s_waitcnt vmcnt(0)
	global_atomic_cmpswap_x2 v[10:11], v27, v[8:11], s[6:7] offset:24 glc
	s_waitcnt vmcnt(0)
	v_cmp_ne_u64_e32 vcc, v[10:11], v[12:13]
	s_and_b64 exec, exec, vcc
	s_cbranch_execz .LBB6_102
; %bb.189:                              ;   in Loop: Header=BB6_103 Depth=1
	s_mov_b64 s[4:5], 0
.LBB6_190:                              ;   Parent Loop BB6_103 Depth=1
                                        ; =>  This Inner Loop Header: Depth=2
	s_sleep 1
	global_store_dwordx2 v[2:3], v[10:11], off
	buffer_wbl2
	s_waitcnt vmcnt(0)
	global_atomic_cmpswap_x2 v[12:13], v27, v[8:11], s[6:7] offset:24 glc
	s_waitcnt vmcnt(0)
	v_cmp_eq_u64_e32 vcc, v[12:13], v[10:11]
	s_or_b64 s[4:5], vcc, s[4:5]
	v_pk_mov_b32 v[10:11], v[12:13], v[12:13] op_sel:[0,1]
	s_andn2_b64 exec, exec, s[4:5]
	s_cbranch_execnz .LBB6_190
	s_branch .LBB6_102
.LBB6_191:
	s_or_saveexec_b64 s[6:7], s[26:27]
	s_mov_b64 s[60:61], 0
	s_xor_b64 exec, exec, s[6:7]
	s_cbranch_execz .LBB6_446
.LBB6_192:
	flat_load_dword v0, v[22:23]
	s_movk_i32 s16, 0x2001
	v_mov_b32_e32 v45, 0
	s_mov_b64 s[10:11], 0
	s_mov_b64 s[12:13], -1
	s_mov_b64 s[14:15], s[4:5]
	buffer_store_dword v45, off, s[0:3], s33 offset:164
                                        ; implicit-def: $vgpr46
                                        ; implicit-def: $vgpr54_vgpr55
	s_waitcnt vmcnt(0) lgkmcnt(0)
	v_add_u32_e32 v0, v0, v44
	v_cmp_gt_i32_e32 vcc, s16, v0
	s_and_saveexec_b64 s[8:9], vcc
	s_cbranch_execz .LBB6_198
; %bb.193:
	flat_load_dword v2, v[42:43]
	v_ashrrev_i32_e32 v1, 31, v0
	v_lshlrev_b64 v[4:5], 2, v[0:1]
	v_add_co_u32_e32 v1, vcc, v22, v4
	v_addc_co_u32_e32 v3, vcc, v23, v5, vcc
	v_lshlrev_b64 v[4:5], 2, v[44:45]
	v_sub_co_u32_e32 v4, vcc, v1, v4
	v_subb_co_u32_e32 v5, vcc, v3, v5, vcc
	v_add_co_u32_e32 v54, vcc, 4, v4
	flat_store_dword v[22:23], v0
	v_addc_co_u32_e32 v55, vcc, 0, v5, vcc
	v_add_u32_e32 v0, v0, v44
	v_cmp_gt_i32_e32 vcc, s16, v0
	s_mov_b64 s[16:17], -1
	s_mov_b64 s[14:15], s[4:5]
	buffer_store_dword v55, off, s[0:3], s33 offset:172
	buffer_store_dword v54, off, s[0:3], s33 offset:168
	;; [unrolled: 1-line block ×3, first 2 shown]
                                        ; implicit-def: $vgpr46
	s_and_saveexec_b64 s[10:11], vcc
	s_cbranch_execz .LBB6_197
; %bb.194:
	v_ashrrev_i32_e32 v45, 31, v44
	v_sub_co_u32_e32 v4, vcc, 0, v44
	v_lshlrev_b64 v[6:7], 2, v[44:45]
	v_subb_co_u32_e64 v5, s[14:15], 0, 0, vcc
	v_add_co_u32_e32 v6, vcc, v1, v6
	flat_store_dword v[22:23], v0
	v_addc_co_u32_e32 v3, vcc, v3, v7, vcc
	v_lshlrev_b64 v[0:1], 2, v[4:5]
	v_add_co_u32_e32 v0, vcc, v6, v0
	v_addc_co_u32_e32 v1, vcc, v3, v1, vcc
	v_add_co_u32_e32 v3, vcc, 4, v0
	v_lshrrev_b32_e64 v6, 6, s33
	v_lshrrev_b32_e64 v7, 6, s33
	s_mov_b64 s[12:13], 0
	v_addc_co_u32_e32 v4, vcc, 0, v1, vcc
	s_waitcnt vmcnt(0) lgkmcnt(0)
	v_not_b32_e32 v5, v2
	s_mov_b32 s14, 0
	v_add_u32_e32 v6, 0xa0, v6
	v_add_u32_e32 v7, 0xb0, v7
	v_pk_mov_b32 v[0:1], v[58:59], v[58:59] op_sel:[0,1]
	buffer_store_dword v4, off, s[0:3], s33 offset:188
	buffer_store_dword v3, off, s[0:3], s33 offset:184
.LBB6_195:                              ; =>This Inner Loop Header: Depth=1
	flat_load_dword v9, v[0:1]
	s_add_i32 s14, s14, 1
	s_waitcnt vmcnt(0) lgkmcnt(0)
	v_and_b32_e32 v8, v9, v2
	v_cmp_eq_u32_e32 vcc, v8, v2
	v_cndmask_b32_e32 v12, v7, v6, vcc
	buffer_load_dword v8, v12, s[0:3], 0 offen offset:4
	v_cndmask_b32_e32 v10, -1, v5, vcc
	v_and_b32_e32 v15, v10, v9
	v_cndmask_b32_e32 v14, v3, v54, vcc
	v_cndmask_b32_e32 v13, v4, v55, vcc
	s_waitcnt vmcnt(0)
	v_ashrrev_i32_e32 v9, 31, v8
	v_lshlrev_b64 v[10:11], 2, v[8:9]
	v_add_co_u32_e32 v10, vcc, v14, v10
	v_addc_co_u32_e32 v11, vcc, v13, v11, vcc
	flat_store_dword v[10:11], v15
	flat_load_dword v44, v[24:25] offset:4
	v_add_co_u32_e32 v0, vcc, 4, v0
	v_addc_co_u32_e32 v1, vcc, 0, v1, vcc
	v_add_u32_e32 v8, 1, v8
	buffer_store_dword v8, v12, s[0:3], 0 offen offset:4
	s_waitcnt vmcnt(0) lgkmcnt(0)
	v_cmp_ge_i32_e32 vcc, s14, v44
	s_or_b64 s[12:13], vcc, s[12:13]
	s_andn2_b64 exec, exec, s[12:13]
	s_cbranch_execnz .LBB6_195
; %bb.196:
	s_or_b64 exec, exec, s[12:13]
	buffer_load_dword v46, off, s[0:3], s33 offset:164
	s_xor_b64 s[16:17], exec, -1
	s_or_b64 s[14:15], s[4:5], exec
.LBB6_197:
	s_or_b64 exec, exec, s[10:11]
	s_and_b64 s[10:11], s[16:17], exec
	s_andn2_b64 s[16:17], s[4:5], exec
	s_and_b64 s[14:15], s[14:15], exec
	s_xor_b64 s[12:13], exec, -1
	s_or_b64 s[14:15], s[16:17], s[14:15]
.LBB6_198:
	s_or_b64 exec, exec, s[8:9]
	s_andn2_b64 s[4:5], s[4:5], exec
	s_and_b64 s[8:9], s[14:15], exec
	s_and_b64 s[60:61], s[12:13], exec
	;; [unrolled: 1-line block ×3, first 2 shown]
	s_or_b64 s[4:5], s[4:5], s[8:9]
	s_or_b64 exec, exec, s[6:7]
                                        ; implicit-def: $vgpr40
	s_and_saveexec_b64 s[62:63], s[4:5]
	s_cbranch_execz .LBB6_1692
	s_branch .LBB6_447
.LBB6_199:
	s_mov_b64 s[4:5], 0
	s_branch .LBB6_201
.LBB6_200:
	s_mov_b64 s[4:5], -1
.LBB6_201:
	s_and_b64 vcc, exec, s[4:5]
	s_cbranch_vccz .LBB6_228
; %bb.202:
	v_readfirstlane_b32 s4, v31
	v_cmp_eq_u32_e64 s[4:5], s4, v31
	s_waitcnt vmcnt(0)
	v_pk_mov_b32 v[8:9], 0, 0
	s_and_saveexec_b64 s[8:9], s[4:5]
	s_cbranch_execz .LBB6_208
; %bb.203:
	v_mov_b32_e32 v2, 0
	global_load_dwordx2 v[6:7], v2, s[6:7] offset:24 glc
	s_waitcnt vmcnt(0)
	buffer_invl2
	buffer_wbinvl1_vol
	global_load_dwordx2 v[4:5], v2, s[6:7] offset:40
	global_load_dwordx2 v[8:9], v2, s[6:7]
	s_waitcnt vmcnt(1)
	v_and_b32_e32 v3, v4, v6
	v_and_b32_e32 v4, v5, v7
	v_mul_lo_u32 v4, v4, 24
	v_mul_hi_u32 v5, v3, 24
	v_mul_lo_u32 v3, v3, 24
	v_add_u32_e32 v5, v5, v4
	s_waitcnt vmcnt(0)
	v_add_co_u32_e32 v4, vcc, v8, v3
	v_addc_co_u32_e32 v5, vcc, v9, v5, vcc
	global_load_dwordx2 v[4:5], v[4:5], off glc
	s_waitcnt vmcnt(0)
	global_atomic_cmpswap_x2 v[8:9], v2, v[4:7], s[6:7] offset:24 glc
	s_waitcnt vmcnt(0)
	buffer_invl2
	buffer_wbinvl1_vol
	v_cmp_ne_u64_e32 vcc, v[8:9], v[6:7]
	s_and_saveexec_b64 s[10:11], vcc
	s_cbranch_execz .LBB6_207
; %bb.204:
	s_mov_b64 s[12:13], 0
.LBB6_205:                              ; =>This Inner Loop Header: Depth=1
	s_sleep 1
	global_load_dwordx2 v[4:5], v2, s[6:7] offset:40
	global_load_dwordx2 v[10:11], v2, s[6:7]
	v_pk_mov_b32 v[6:7], v[8:9], v[8:9] op_sel:[0,1]
	s_waitcnt vmcnt(1)
	v_and_b32_e32 v4, v4, v6
	v_and_b32_e32 v3, v5, v7
	s_waitcnt vmcnt(0)
	v_mad_u64_u32 v[4:5], s[14:15], v4, 24, v[10:11]
	v_mov_b32_e32 v8, v5
	v_mad_u64_u32 v[8:9], s[14:15], v3, 24, v[8:9]
	v_mov_b32_e32 v5, v8
	global_load_dwordx2 v[4:5], v[4:5], off glc
	s_waitcnt vmcnt(0)
	global_atomic_cmpswap_x2 v[8:9], v2, v[4:7], s[6:7] offset:24 glc
	s_waitcnt vmcnt(0)
	buffer_invl2
	buffer_wbinvl1_vol
	v_cmp_eq_u64_e32 vcc, v[8:9], v[6:7]
	s_or_b64 s[12:13], vcc, s[12:13]
	s_andn2_b64 exec, exec, s[12:13]
	s_cbranch_execnz .LBB6_205
; %bb.206:
	s_or_b64 exec, exec, s[12:13]
.LBB6_207:
	s_or_b64 exec, exec, s[10:11]
.LBB6_208:
	s_or_b64 exec, exec, s[8:9]
	v_mov_b32_e32 v2, 0
	global_load_dwordx2 v[10:11], v2, s[6:7] offset:40
	global_load_dwordx4 v[4:7], v2, s[6:7]
	v_readfirstlane_b32 s8, v8
	v_readfirstlane_b32 s9, v9
	s_mov_b64 s[10:11], exec
	s_waitcnt vmcnt(1)
	v_readfirstlane_b32 s12, v10
	v_readfirstlane_b32 s13, v11
	s_and_b64 s[12:13], s[8:9], s[12:13]
	s_mul_i32 s14, s13, 24
	s_mul_hi_u32 s15, s12, 24
	s_mul_i32 s16, s12, 24
	s_add_i32 s14, s15, s14
	v_mov_b32_e32 v3, s14
	s_waitcnt vmcnt(0)
	v_add_co_u32_e32 v8, vcc, s16, v4
	v_addc_co_u32_e32 v9, vcc, v5, v3, vcc
	s_and_saveexec_b64 s[14:15], s[4:5]
	s_cbranch_execz .LBB6_210
; %bb.209:
	v_pk_mov_b32 v[10:11], s[10:11], s[10:11] op_sel:[0,1]
	v_mov_b32_e32 v12, 2
	v_mov_b32_e32 v13, 1
	global_store_dwordx4 v[8:9], v[10:13], off offset:8
.LBB6_210:
	s_or_b64 exec, exec, s[14:15]
	s_lshl_b64 s[10:11], s[12:13], 12
	v_mov_b32_e32 v3, s11
	v_add_co_u32_e32 v6, vcc, s10, v6
	v_addc_co_u32_e32 v7, vcc, v7, v3, vcc
	s_movk_i32 s10, 0xff1d
	s_mov_b32 s12, 0
	v_and_or_b32 v0, v0, s10, 34
	v_mov_b32_e32 v3, v2
	v_readfirstlane_b32 s10, v6
	v_readfirstlane_b32 s11, v7
	s_mov_b32 s13, s12
	s_mov_b32 s14, s12
	;; [unrolled: 1-line block ×3, first 2 shown]
	s_nop 1
	global_store_dwordx4 v30, v[0:3], s[10:11]
	s_nop 0
	v_pk_mov_b32 v[0:1], s[12:13], s[12:13] op_sel:[0,1]
	v_pk_mov_b32 v[2:3], s[14:15], s[14:15] op_sel:[0,1]
	global_store_dwordx4 v30, v[0:3], s[10:11] offset:16
	global_store_dwordx4 v30, v[0:3], s[10:11] offset:32
	global_store_dwordx4 v30, v[0:3], s[10:11] offset:48
	s_and_saveexec_b64 s[10:11], s[4:5]
	s_cbranch_execz .LBB6_218
; %bb.211:
	v_mov_b32_e32 v6, 0
	global_load_dwordx2 v[12:13], v6, s[6:7] offset:32 glc
	global_load_dwordx2 v[0:1], v6, s[6:7] offset:40
	v_mov_b32_e32 v10, s8
	v_mov_b32_e32 v11, s9
	s_waitcnt vmcnt(0)
	v_readfirstlane_b32 s12, v0
	v_readfirstlane_b32 s13, v1
	s_and_b64 s[12:13], s[12:13], s[8:9]
	s_mul_i32 s13, s13, 24
	s_mul_hi_u32 s14, s12, 24
	s_mul_i32 s12, s12, 24
	s_add_i32 s13, s14, s13
	v_mov_b32_e32 v0, s13
	v_add_co_u32_e32 v4, vcc, s12, v4
	v_addc_co_u32_e32 v5, vcc, v5, v0, vcc
	global_store_dwordx2 v[4:5], v[12:13], off
	buffer_wbl2
	s_waitcnt vmcnt(0)
	global_atomic_cmpswap_x2 v[2:3], v6, v[10:13], s[6:7] offset:32 glc
	s_waitcnt vmcnt(0)
	v_cmp_ne_u64_e32 vcc, v[2:3], v[12:13]
	s_and_saveexec_b64 s[12:13], vcc
	s_cbranch_execz .LBB6_214
; %bb.212:
	s_mov_b64 s[14:15], 0
.LBB6_213:                              ; =>This Inner Loop Header: Depth=1
	s_sleep 1
	global_store_dwordx2 v[4:5], v[2:3], off
	v_mov_b32_e32 v0, s8
	v_mov_b32_e32 v1, s9
	buffer_wbl2
	s_waitcnt vmcnt(0)
	global_atomic_cmpswap_x2 v[0:1], v6, v[0:3], s[6:7] offset:32 glc
	s_waitcnt vmcnt(0)
	v_cmp_eq_u64_e32 vcc, v[0:1], v[2:3]
	s_or_b64 s[14:15], vcc, s[14:15]
	v_pk_mov_b32 v[2:3], v[0:1], v[0:1] op_sel:[0,1]
	s_andn2_b64 exec, exec, s[14:15]
	s_cbranch_execnz .LBB6_213
.LBB6_214:
	s_or_b64 exec, exec, s[12:13]
	v_mov_b32_e32 v3, 0
	global_load_dwordx2 v[0:1], v3, s[6:7] offset:16
	s_mov_b64 s[12:13], exec
	v_mbcnt_lo_u32_b32 v2, s12, 0
	v_mbcnt_hi_u32_b32 v2, s13, v2
	v_cmp_eq_u32_e32 vcc, 0, v2
	s_and_saveexec_b64 s[14:15], vcc
	s_cbranch_execz .LBB6_216
; %bb.215:
	s_bcnt1_i32_b64 s12, s[12:13]
	v_mov_b32_e32 v2, s12
	buffer_wbl2
	s_waitcnt vmcnt(0)
	global_atomic_add_x2 v[0:1], v[2:3], off offset:8
.LBB6_216:
	s_or_b64 exec, exec, s[14:15]
	s_waitcnt vmcnt(0)
	global_load_dwordx2 v[2:3], v[0:1], off offset:16
	s_waitcnt vmcnt(0)
	v_cmp_eq_u64_e32 vcc, 0, v[2:3]
	s_cbranch_vccnz .LBB6_218
; %bb.217:
	global_load_dword v0, v[0:1], off offset:24
	v_mov_b32_e32 v1, 0
	buffer_wbl2
	s_waitcnt vmcnt(0)
	global_store_dwordx2 v[2:3], v[0:1], off
	v_and_b32_e32 v0, 0xffffff, v0
	v_readfirstlane_b32 m0, v0
	s_sendmsg sendmsg(MSG_INTERRUPT)
.LBB6_218:
	s_or_b64 exec, exec, s[10:11]
	s_branch .LBB6_220
.LBB6_219:
	s_branch .LBB6_224
.LBB6_220:                              ; =>This Inner Loop Header: Depth=1
	v_mov_b32_e32 v0, 1
	s_and_saveexec_b64 s[10:11], s[4:5]
	s_cbranch_execz .LBB6_222
; %bb.221:                              ;   in Loop: Header=BB6_220 Depth=1
	global_load_dword v0, v[8:9], off offset:20 glc
	s_waitcnt vmcnt(0)
	buffer_invl2
	buffer_wbinvl1_vol
	v_and_b32_e32 v0, 1, v0
.LBB6_222:                              ;   in Loop: Header=BB6_220 Depth=1
	s_or_b64 exec, exec, s[10:11]
	v_readfirstlane_b32 s10, v0
	s_cmp_eq_u32 s10, 0
	s_cbranch_scc1 .LBB6_219
; %bb.223:                              ;   in Loop: Header=BB6_220 Depth=1
	s_sleep 1
	s_cbranch_execnz .LBB6_220
.LBB6_224:
	s_and_saveexec_b64 s[10:11], s[4:5]
	s_cbranch_execz .LBB6_227
; %bb.225:
	v_mov_b32_e32 v6, 0
	global_load_dwordx2 v[4:5], v6, s[6:7] offset:40
	global_load_dwordx2 v[8:9], v6, s[6:7] offset:24 glc
	global_load_dwordx2 v[10:11], v6, s[6:7]
	v_mov_b32_e32 v1, s9
	s_mov_b64 s[4:5], 0
	s_waitcnt vmcnt(2)
	v_add_co_u32_e32 v3, vcc, 1, v4
	v_addc_co_u32_e32 v7, vcc, 0, v5, vcc
	v_add_co_u32_e32 v0, vcc, s8, v3
	v_addc_co_u32_e32 v1, vcc, v7, v1, vcc
	v_cmp_eq_u64_e32 vcc, 0, v[0:1]
	v_cndmask_b32_e32 v1, v1, v7, vcc
	v_cndmask_b32_e32 v0, v0, v3, vcc
	v_and_b32_e32 v3, v1, v5
	v_and_b32_e32 v4, v0, v4
	v_mul_lo_u32 v3, v3, 24
	v_mul_hi_u32 v5, v4, 24
	v_mul_lo_u32 v4, v4, 24
	v_add_u32_e32 v3, v5, v3
	s_waitcnt vmcnt(0)
	v_add_co_u32_e32 v4, vcc, v10, v4
	v_addc_co_u32_e32 v5, vcc, v11, v3, vcc
	v_mov_b32_e32 v2, v8
	global_store_dwordx2 v[4:5], v[8:9], off
	v_mov_b32_e32 v3, v9
	buffer_wbl2
	s_waitcnt vmcnt(0)
	global_atomic_cmpswap_x2 v[2:3], v6, v[0:3], s[6:7] offset:24 glc
	s_waitcnt vmcnt(0)
	v_cmp_ne_u64_e32 vcc, v[2:3], v[8:9]
	s_and_b64 exec, exec, vcc
	s_cbranch_execz .LBB6_227
.LBB6_226:                              ; =>This Inner Loop Header: Depth=1
	s_sleep 1
	global_store_dwordx2 v[4:5], v[2:3], off
	buffer_wbl2
	s_waitcnt vmcnt(0)
	global_atomic_cmpswap_x2 v[8:9], v6, v[0:3], s[6:7] offset:24 glc
	s_waitcnt vmcnt(0)
	v_cmp_eq_u64_e32 vcc, v[8:9], v[2:3]
	s_or_b64 s[4:5], vcc, s[4:5]
	v_pk_mov_b32 v[2:3], v[8:9], v[8:9] op_sel:[0,1]
	s_andn2_b64 exec, exec, s[4:5]
	s_cbranch_execnz .LBB6_226
.LBB6_227:
	s_or_b64 exec, exec, s[10:11]
.LBB6_228:
	s_getpc_b64 s[4:5]
	s_add_u32 s4, s4, .str.29@rel32@lo+4
	s_addc_u32 s5, s5, .str.29@rel32@hi+12
	s_getpc_b64 s[6:7]
	s_add_u32 s6, s6, .str.19@rel32@lo+4
	s_addc_u32 s7, s7, .str.19@rel32@hi+12
	s_getpc_b64 s[10:11]
	s_add_u32 s10, s10, __PRETTY_FUNCTION__._ZN7VecsMemIjLi8192EE5fetchEi@rel32@lo+4
	s_addc_u32 s11, s11, __PRETTY_FUNCTION__._ZN7VecsMemIjLi8192EE5fetchEi@rel32@hi+12
	s_mov_b64 s[8:9], s[48:49]
	s_waitcnt vmcnt(0)
	v_mov_b32_e32 v0, s4
	v_mov_b32_e32 v1, s5
	;; [unrolled: 1-line block ×7, first 2 shown]
	s_getpc_b64 s[12:13]
	s_add_u32 s12, s12, __assert_fail@rel32@lo+4
	s_addc_u32 s13, s13, __assert_fail@rel32@hi+12
	s_swappc_b64 s[30:31], s[12:13]
	v_accvgpr_read_b32 v21, a1
	v_accvgpr_read_b32 v23, a3
	;; [unrolled: 1-line block ×3, first 2 shown]
	s_or_b64 s[4:5], s[28:29], exec
	v_accvgpr_read_b32 v20, a0
	v_accvgpr_read_b32 v22, a2
	;; [unrolled: 1-line block ×3, first 2 shown]
.LBB6_229:
	s_or_b64 exec, exec, s[38:39]
	s_andn2_b64 s[6:7], s[28:29], exec
	s_and_b64 s[4:5], s[4:5], exec
	s_or_b64 s[38:39], s[6:7], s[4:5]
	s_orn2_b64 s[6:7], s[42:43], exec
.LBB6_230:
	s_or_b64 exec, exec, s[40:41]
	s_mov_b64 s[4:5], 0
                                        ; implicit-def: $vgpr46
	s_and_saveexec_b64 s[40:41], s[6:7]
	s_cbranch_execz .LBB6_445
; %bb.231:
	v_add_co_u32_e32 v0, vcc, 4, v58
	s_mov_b32 s15, 0
	v_addc_co_u32_e32 v1, vcc, 0, v59, vcc
	s_mov_b64 s[12:13], 0
	v_mov_b32_e32 v46, 0
	v_mov_b32_e32 v3, 0
	s_mov_b32 s16, s15
	v_mov_b32_e32 v8, 0
	buffer_store_dword v55, off, s[0:3], s33 offset:172
	buffer_store_dword v54, off, s[0:3], s33 offset:168
                                        ; implicit-def: $sgpr10_sgpr11
	s_branch .LBB6_233
.LBB6_232:                              ;   in Loop: Header=BB6_233 Depth=1
	s_or_b64 exec, exec, s[18:19]
	s_xor_b64 s[4:5], s[4:5], -1
	s_and_b64 s[6:7], exec, s[6:7]
	s_or_b64 s[12:13], s[6:7], s[12:13]
	s_andn2_b64 s[6:7], s[10:11], exec
	s_and_b64 s[4:5], s[4:5], exec
	s_or_b64 s[10:11], s[6:7], s[4:5]
	s_andn2_b64 exec, exec, s[12:13]
	s_cbranch_execz .LBB6_277
.LBB6_233:                              ; =>This Loop Header: Depth=1
                                        ;     Child Loop BB6_236 Depth 2
                                        ;     Child Loop BB6_241 Depth 2
                                        ;       Child Loop BB6_245 Depth 3
                                        ;     Child Loop BB6_254 Depth 2
                                        ;       Child Loop BB6_260 Depth 3
	s_mov_b32 s17, s15
	s_lshl_b64 s[4:5], s[16:17], 2
	v_mov_b32_e32 v2, s5
	v_add_co_u32_e32 v4, vcc, s4, v58
	v_addc_co_u32_e32 v5, vcc, v59, v2, vcc
	flat_load_dword v2, v[4:5]
	s_mov_b64 s[8:9], -1
                                        ; implicit-def: $sgpr4_sgpr5
	s_waitcnt vmcnt(0) lgkmcnt(0)
	v_cmp_lt_i32_e32 vcc, -1, v2
	s_and_saveexec_b64 s[18:19], vcc
	s_cbranch_execz .LBB6_275
; %bb.234:                              ;   in Loop: Header=BB6_233 Depth=1
	s_mov_b32 s14, 0
	s_mov_b64 s[4:5], 0
	v_pk_mov_b32 v[6:7], v[42:43], v[42:43] op_sel:[0,1]
                                        ; implicit-def: $sgpr6_sgpr7
	s_branch .LBB6_236
.LBB6_235:                              ;   in Loop: Header=BB6_236 Depth=2
	s_or_b64 exec, exec, s[8:9]
	s_and_b64 s[8:9], exec, s[6:7]
	s_or_b64 s[4:5], s[8:9], s[4:5]
	s_andn2_b64 exec, exec, s[4:5]
	s_cbranch_execz .LBB6_238
.LBB6_236:                              ;   Parent Loop BB6_233 Depth=1
                                        ; =>  This Inner Loop Header: Depth=2
	flat_load_dword v10, v[6:7]
	v_mov_b32_e32 v9, s14
	s_or_b64 s[6:7], s[6:7], exec
	s_waitcnt vmcnt(0) lgkmcnt(0)
	v_and_b32_e32 v11, v10, v2
	v_cmp_ne_u32_e32 vcc, v11, v10
	s_and_saveexec_b64 s[8:9], vcc
	s_cbranch_execz .LBB6_235
; %bb.237:                              ;   in Loop: Header=BB6_236 Depth=2
	v_add_co_u32_e32 v6, vcc, 4, v6
	s_add_i32 s14, s14, 1
	v_addc_co_u32_e32 v7, vcc, 0, v7, vcc
	v_cmp_eq_u32_e32 vcc, s14, v45
	s_andn2_b64 s[6:7], s[6:7], exec
	s_and_b64 s[20:21], vcc, exec
	s_or_b64 s[6:7], s[6:7], s[20:21]
	v_mov_b32_e32 v9, v45
	s_branch .LBB6_235
.LBB6_238:                              ;   in Loop: Header=BB6_233 Depth=1
	s_or_b64 exec, exec, s[4:5]
	v_cmp_ne_u32_e32 vcc, v9, v45
	s_mov_b64 s[6:7], -1
                                        ; implicit-def: $sgpr8_sgpr9
	s_and_saveexec_b64 s[20:21], vcc
	s_cbranch_execz .LBB6_274
; %bb.239:                              ;   in Loop: Header=BB6_233 Depth=1
	v_not_b32_e32 v6, v10
	v_and_b32_e32 v10, v2, v6
	s_mov_b32 s14, 0
	v_cmp_lt_i32_e32 vcc, 0, v44
	s_mov_b64 s[22:23], 0
	s_branch .LBB6_241
.LBB6_240:                              ;   in Loop: Header=BB6_241 Depth=2
	s_or_b64 exec, exec, s[8:9]
	s_and_b64 s[4:5], exec, s[24:25]
	s_or_b64 s[22:23], s[4:5], s[22:23]
	s_andn2_b64 exec, exec, s[22:23]
	s_cbranch_execz .LBB6_251
.LBB6_241:                              ;   Parent Loop BB6_233 Depth=1
                                        ; =>  This Loop Header: Depth=2
                                        ;       Child Loop BB6_245 Depth 3
	v_cmp_ne_u32_e64 s[4:5], s14, v9
	s_mov_b64 s[24:25], -1
	s_mov_b64 s[6:7], -1
	s_and_saveexec_b64 s[30:31], s[4:5]
	s_cbranch_execz .LBB6_249
; %bb.242:                              ;   in Loop: Header=BB6_241 Depth=2
	v_mov_b32_e32 v13, 0
	s_and_saveexec_b64 s[42:43], vcc
	s_cbranch_execz .LBB6_248
; %bb.243:                              ;   in Loop: Header=BB6_241 Depth=2
	s_lshl_b64 s[4:5], s[14:15], 2
	v_mov_b32_e32 v7, s5
	v_add_co_u32_e64 v6, s[4:5], s4, v42
	v_addc_co_u32_e64 v7, s[4:5], v43, v7, s[4:5]
	flat_load_dword v11, v[6:7]
	s_mov_b32 s17, 0
	s_mov_b64 s[44:45], 0
	v_pk_mov_b32 v[6:7], v[58:59], v[58:59] op_sel:[0,1]
                                        ; implicit-def: $sgpr58_sgpr59
	s_waitcnt vmcnt(0) lgkmcnt(0)
	v_not_b32_e32 v12, v11
	s_branch .LBB6_245
.LBB6_244:                              ;   in Loop: Header=BB6_245 Depth=3
	s_or_b64 exec, exec, s[6:7]
	s_and_b64 s[4:5], exec, s[58:59]
	s_or_b64 s[44:45], s[4:5], s[44:45]
	s_andn2_b64 exec, exec, s[44:45]
	s_cbranch_execz .LBB6_247
.LBB6_245:                              ;   Parent Loop BB6_233 Depth=1
                                        ;     Parent Loop BB6_241 Depth=2
                                        ; =>    This Inner Loop Header: Depth=3
	flat_load_dword v8, v[6:7]
	v_mov_b32_e32 v13, s17
	s_or_b64 s[58:59], s[58:59], exec
	s_waitcnt vmcnt(0) lgkmcnt(0)
	v_and_b32_e32 v14, v8, v11
	v_and_b32_e32 v15, v8, v12
	v_cmp_ne_u32_e64 s[6:7], v14, v11
	v_cmp_ne_u32_e64 s[8:9], v10, v15
	v_cmp_gt_i32_e64 s[4:5], 0, v8
	s_or_b64 s[6:7], s[6:7], s[8:9]
	s_or_b64 s[4:5], s[6:7], s[4:5]
	s_and_saveexec_b64 s[6:7], s[4:5]
	s_cbranch_execz .LBB6_244
; %bb.246:                              ;   in Loop: Header=BB6_245 Depth=3
	v_add_co_u32_e64 v6, s[4:5], 4, v6
	s_add_i32 s17, s17, 1
	v_addc_co_u32_e64 v7, s[4:5], 0, v7, s[4:5]
	v_cmp_eq_u32_e64 s[4:5], s17, v44
	s_andn2_b64 s[8:9], s[58:59], exec
	s_and_b64 s[4:5], s[4:5], exec
	s_or_b64 s[58:59], s[8:9], s[4:5]
	v_mov_b32_e32 v13, v44
	s_branch .LBB6_244
.LBB6_247:                              ;   in Loop: Header=BB6_241 Depth=2
	s_or_b64 exec, exec, s[44:45]
.LBB6_248:                              ;   in Loop: Header=BB6_241 Depth=2
	s_or_b64 exec, exec, s[42:43]
	v_cmp_ne_u32_e64 s[4:5], v13, v44
	s_orn2_b64 s[6:7], s[4:5], exec
.LBB6_249:                              ;   in Loop: Header=BB6_241 Depth=2
	s_or_b64 exec, exec, s[30:31]
	v_mov_b32_e32 v6, s14
	s_and_saveexec_b64 s[8:9], s[6:7]
	s_cbranch_execz .LBB6_240
; %bb.250:                              ;   in Loop: Header=BB6_241 Depth=2
	s_add_i32 s14, s14, 1
	v_cmp_eq_u32_e64 s[4:5], s14, v45
	s_orn2_b64 s[24:25], s[4:5], exec
	v_mov_b32_e32 v6, v45
	s_branch .LBB6_240
.LBB6_251:                              ;   in Loop: Header=BB6_233 Depth=1
	s_or_b64 exec, exec, s[22:23]
	v_cmp_eq_u32_e32 vcc, v6, v45
	s_mov_b64 s[4:5], -1
                                        ; implicit-def: $sgpr6_sgpr7
	s_and_saveexec_b64 s[8:9], vcc
	s_cbranch_execz .LBB6_273
; %bb.252:                              ;   in Loop: Header=BB6_233 Depth=1
	v_ashrrev_i32_e32 v47, 31, v46
	v_lshlrev_b64 v[6:7], 2, v[46:47]
	v_add_co_u32_e32 v6, vcc, v54, v6
	v_addc_co_u32_e32 v7, vcc, v55, v7, vcc
	v_or_b32_e32 v2, 0x80000000, v2
	s_mov_b32 s14, 0
	s_mov_b64 s[30:31], 0
	flat_store_dword v[6:7], v10
	flat_store_dword v[4:5], v2
                                        ; implicit-def: $sgpr22_sgpr23
                                        ; implicit-def: $sgpr24_sgpr25
	s_branch .LBB6_254
.LBB6_253:                              ;   in Loop: Header=BB6_254 Depth=2
	s_or_b64 exec, exec, s[44:45]
	s_xor_b64 s[6:7], s[6:7], -1
	s_and_b64 vcc, exec, s[42:43]
	s_or_b64 s[30:31], vcc, s[30:31]
	s_andn2_b64 s[24:25], s[24:25], exec
	s_and_b64 s[6:7], s[6:7], exec
	s_or_b64 s[24:25], s[24:25], s[6:7]
	s_andn2_b64 s[6:7], s[22:23], exec
	s_and_b64 s[4:5], s[4:5], exec
	s_or_b64 s[22:23], s[6:7], s[4:5]
	s_andn2_b64 exec, exec, s[30:31]
	s_cbranch_execz .LBB6_270
.LBB6_254:                              ;   Parent Loop BB6_233 Depth=1
                                        ; =>  This Loop Header: Depth=2
                                        ;       Child Loop BB6_260 Depth 3
	v_cmp_ne_u32_e32 vcc, s14, v9
	s_mov_b64 s[42:43], -1
	s_mov_b64 s[58:59], -1
                                        ; implicit-def: $sgpr4_sgpr5
	s_and_saveexec_b64 s[44:45], vcc
	s_cbranch_execz .LBB6_268
; %bb.255:                              ;   in Loop: Header=BB6_254 Depth=2
	flat_load_dword v6, v[24:25] offset:4
	s_mov_b64 s[58:59], 0
	v_mov_b32_e32 v2, 0
	s_mov_b64 s[4:5], 0
	s_waitcnt vmcnt(0) lgkmcnt(0)
	v_cmp_lt_i32_e32 vcc, 0, v6
	s_and_saveexec_b64 s[60:61], vcc
	s_cbranch_execz .LBB6_265
; %bb.256:                              ;   in Loop: Header=BB6_254 Depth=2
	s_lshl_b64 s[4:5], s[14:15], 2
	v_mov_b32_e32 v2, s5
	v_add_co_u32_e32 v4, vcc, s4, v42
	v_addc_co_u32_e32 v5, vcc, v43, v2, vcc
	flat_load_dword v8, v[58:59]
	flat_load_dword v7, v[4:5]
	s_mov_b64 s[64:65], -1
	s_waitcnt vmcnt(0) lgkmcnt(0)
	v_cmp_gt_i32_e32 vcc, 0, v8
	v_not_b32_e32 v11, v7
	v_and_b32_e32 v2, v8, v7
	v_cmp_ne_u32_e64 s[4:5], v2, v7
	v_and_b32_e32 v2, v8, v11
	v_cmp_ne_u32_e64 s[6:7], v10, v2
	s_or_b64 s[4:5], s[4:5], s[6:7]
	s_or_b64 s[4:5], s[4:5], vcc
	v_mov_b32_e32 v2, 0
	s_and_saveexec_b64 s[62:63], s[4:5]
	s_cbranch_execz .LBB6_264
; %bb.257:                              ;   in Loop: Header=BB6_254 Depth=2
	s_mov_b32 s17, 1
	v_cmp_ne_u32_e32 vcc, 1, v6
	v_mov_b32_e32 v2, 1
	s_and_saveexec_b64 s[64:65], vcc
	s_cbranch_execz .LBB6_263
; %bb.258:                              ;   in Loop: Header=BB6_254 Depth=2
	s_mov_b64 s[66:67], 0
	v_pk_mov_b32 v[4:5], v[0:1], v[0:1] op_sel:[0,1]
                                        ; implicit-def: $sgpr68_sgpr69
	s_branch .LBB6_260
.LBB6_259:                              ;   in Loop: Header=BB6_260 Depth=3
	s_or_b64 exec, exec, s[4:5]
	s_and_b64 s[4:5], exec, s[68:69]
	s_or_b64 s[66:67], s[4:5], s[66:67]
	s_andn2_b64 exec, exec, s[66:67]
	s_cbranch_execz .LBB6_262
.LBB6_260:                              ;   Parent Loop BB6_233 Depth=1
                                        ;     Parent Loop BB6_254 Depth=2
                                        ; =>    This Inner Loop Header: Depth=3
	flat_load_dword v8, v[4:5]
	v_mov_b32_e32 v2, s17
	s_or_b64 s[68:69], s[68:69], exec
	s_waitcnt vmcnt(0) lgkmcnt(0)
	v_and_b32_e32 v12, v8, v7
	v_and_b32_e32 v13, v8, v11
	v_cmp_ne_u32_e64 s[4:5], v12, v7
	v_cmp_ne_u32_e64 s[6:7], v10, v13
	v_cmp_gt_i32_e32 vcc, 0, v8
	s_or_b64 s[4:5], s[4:5], s[6:7]
	s_or_b64 s[6:7], s[4:5], vcc
	s_and_saveexec_b64 s[4:5], s[6:7]
	s_cbranch_execz .LBB6_259
; %bb.261:                              ;   in Loop: Header=BB6_260 Depth=3
	v_add_co_u32_e32 v4, vcc, 4, v4
	s_add_i32 s17, s17, 1
	v_addc_co_u32_e32 v5, vcc, 0, v5, vcc
	v_cmp_eq_u32_e32 vcc, s17, v6
	s_andn2_b64 s[6:7], s[68:69], exec
	s_and_b64 vcc, vcc, exec
	s_or_b64 s[68:69], s[6:7], vcc
	v_mov_b32_e32 v2, v6
	s_branch .LBB6_259
.LBB6_262:                              ;   in Loop: Header=BB6_254 Depth=2
	s_or_b64 exec, exec, s[66:67]
.LBB6_263:                              ;   in Loop: Header=BB6_254 Depth=2
	s_or_b64 exec, exec, s[64:65]
	v_cmp_lt_i32_e32 vcc, v2, v6
	s_orn2_b64 s[64:65], vcc, exec
.LBB6_264:                              ;   in Loop: Header=BB6_254 Depth=2
	s_or_b64 exec, exec, s[62:63]
	s_and_b64 s[4:5], s[64:65], exec
.LBB6_265:                              ;   in Loop: Header=BB6_254 Depth=2
	s_or_b64 exec, exec, s[60:61]
	s_and_saveexec_b64 s[6:7], s[4:5]
	s_cbranch_execz .LBB6_267
; %bb.266:                              ;   in Loop: Header=BB6_254 Depth=2
	v_lshlrev_b64 v[4:5], 2, v[2:3]
	v_add_co_u32_e32 v4, vcc, v58, v4
	s_mov_b64 s[58:59], exec
	v_or_b32_e32 v6, 0x80000000, v8
	v_addc_co_u32_e32 v5, vcc, v59, v5, vcc
	flat_store_dword v[4:5], v6
.LBB6_267:                              ;   in Loop: Header=BB6_254 Depth=2
	s_or_b64 exec, exec, s[6:7]
	s_mov_b64 s[4:5], -1
	s_orn2_b64 s[58:59], s[58:59], exec
.LBB6_268:                              ;   in Loop: Header=BB6_254 Depth=2
	s_or_b64 exec, exec, s[44:45]
	s_mov_b64 s[6:7], s[4:5]
	s_and_saveexec_b64 s[44:45], s[58:59]
	s_cbranch_execz .LBB6_253
; %bb.269:                              ;   in Loop: Header=BB6_254 Depth=2
	s_add_i32 s14, s14, 1
	v_cmp_eq_u32_e32 vcc, s14, v45
	s_andn2_b64 s[6:7], s[4:5], exec
	s_orn2_b64 s[42:43], vcc, exec
	s_branch .LBB6_253
.LBB6_270:                              ;   in Loop: Header=BB6_233 Depth=1
	s_or_b64 exec, exec, s[30:31]
	s_mov_b64 s[4:5], 0
                                        ; implicit-def: $vgpr44
	s_and_saveexec_b64 s[6:7], s[24:25]
	s_xor_b64 s[6:7], exec, s[6:7]
	s_cbranch_execz .LBB6_272
; %bb.271:                              ;   in Loop: Header=BB6_233 Depth=1
	flat_load_dword v44, v[24:25] offset:4
	s_mov_b64 s[4:5], exec
	v_add_u32_e32 v46, 1, v46
	s_andn2_b64 s[22:23], s[22:23], exec
.LBB6_272:                              ;   in Loop: Header=BB6_233 Depth=1
	s_or_b64 exec, exec, s[6:7]
	s_and_b64 s[6:7], s[22:23], exec
	s_orn2_b64 s[4:5], s[4:5], exec
.LBB6_273:                              ;   in Loop: Header=BB6_233 Depth=1
	s_or_b64 exec, exec, s[8:9]
	s_and_b64 s[8:9], s[6:7], exec
	s_orn2_b64 s[6:7], s[4:5], exec
.LBB6_274:                              ;   in Loop: Header=BB6_233 Depth=1
	s_or_b64 exec, exec, s[20:21]
	s_and_b64 s[4:5], s[8:9], exec
	s_orn2_b64 s[8:9], s[6:7], exec
.LBB6_275:                              ;   in Loop: Header=BB6_233 Depth=1
	s_or_b64 exec, exec, s[18:19]
	s_mov_b64 s[6:7], -1
	s_and_saveexec_b64 s[18:19], s[8:9]
	s_cbranch_execz .LBB6_232
; %bb.276:                              ;   in Loop: Header=BB6_233 Depth=1
	s_add_i32 s16, s16, 1
	s_waitcnt vmcnt(0) lgkmcnt(0)
	v_cmp_ge_i32_e32 vcc, s16, v44
	s_andn2_b64 s[4:5], s[4:5], exec
	s_orn2_b64 s[6:7], vcc, exec
	s_branch .LBB6_232
.LBB6_277:
	s_or_b64 exec, exec, s[12:13]
	s_mov_b64 s[44:45], 0
	s_mov_b64 s[58:59], s[38:39]
	s_and_saveexec_b64 s[4:5], s[10:11]
	s_xor_b64 s[42:43], exec, s[4:5]
	s_cbranch_execz .LBB6_442
; %bb.278:
	v_mul_lo_u32 v0, v46, v45
	s_waitcnt vmcnt(0) lgkmcnt(0)
	v_sub_u32_e32 v42, v44, v0
	v_mov_b32_e32 v0, 0
	v_cmp_lt_i32_e32 vcc, 0, v42
	s_mov_b64 s[6:7], -1
	v_pk_mov_b32 v[56:57], 0, 0
	s_mov_b64 s[60:61], s[38:39]
	buffer_store_dword v46, off, s[0:3], s33 offset:164
	buffer_store_dword v0, off, s[0:3], s33 offset:180
	s_and_saveexec_b64 s[44:45], vcc
	s_cbranch_execz .LBB6_429
; %bb.279:
	flat_load_dword v0, v[22:23]
	s_movk_i32 s4, 0x2001
	s_mov_b64 s[58:59], 0
	v_pk_mov_b32 v[56:57], 0, 0
	s_waitcnt vmcnt(0) lgkmcnt(0)
	v_add_u32_e32 v0, v0, v42
	v_cmp_gt_i32_e32 vcc, s4, v0
	s_and_saveexec_b64 s[4:5], vcc
	s_xor_b64 s[4:5], exec, s[4:5]
	s_cbranch_execz .LBB6_281
; %bb.280:
	v_ashrrev_i32_e32 v1, 31, v0
	flat_store_dword v[22:23], v0
	v_lshlrev_b64 v[0:1], 2, v[0:1]
	v_add_co_u32_e32 v2, vcc, v22, v0
	v_mov_b32_e32 v43, 0
	v_addc_co_u32_e32 v3, vcc, v23, v1, vcc
	v_lshlrev_b64 v[0:1], 2, v[42:43]
	v_sub_co_u32_e32 v0, vcc, v2, v0
	v_subb_co_u32_e32 v1, vcc, v3, v1, vcc
	v_add_co_u32_e32 v56, vcc, 4, v0
	s_mov_b64 s[58:59], exec
	v_addc_co_u32_e32 v57, vcc, 0, v1, vcc
.LBB6_281:
	s_or_saveexec_b64 s[60:61], s[4:5]
	s_mov_b64 s[4:5], s[38:39]
	s_xor_b64 exec, exec, s[60:61]
	s_cbranch_execz .LBB6_428
; %bb.282:
	s_load_dwordx2 s[6:7], s[48:49], 0x50
	v_mbcnt_lo_u32_b32 v0, -1, 0
	v_mbcnt_hi_u32_b32 v31, -1, v0
	v_accvgpr_write_b32 a4, v24
	v_accvgpr_write_b32 a2, v22
	v_accvgpr_write_b32 a0, v20
	v_readfirstlane_b32 s4, v31
	v_accvgpr_write_b32 a5, v25
	v_accvgpr_write_b32 a3, v23
	;; [unrolled: 1-line block ×3, first 2 shown]
	v_cmp_eq_u32_e64 s[4:5], s4, v31
	v_pk_mov_b32 v[6:7], 0, 0
	s_and_saveexec_b64 s[8:9], s[4:5]
	s_cbranch_execz .LBB6_288
; %bb.283:
	v_mov_b32_e32 v0, 0
	s_waitcnt lgkmcnt(0)
	global_load_dwordx2 v[4:5], v0, s[6:7] offset:24 glc
	s_waitcnt vmcnt(0)
	buffer_invl2
	buffer_wbinvl1_vol
	global_load_dwordx2 v[2:3], v0, s[6:7] offset:40
	global_load_dwordx2 v[6:7], v0, s[6:7]
	s_waitcnt vmcnt(1)
	v_and_b32_e32 v1, v2, v4
	v_and_b32_e32 v2, v3, v5
	v_mul_lo_u32 v2, v2, 24
	v_mul_hi_u32 v3, v1, 24
	v_mul_lo_u32 v1, v1, 24
	v_add_u32_e32 v3, v3, v2
	s_waitcnt vmcnt(0)
	v_add_co_u32_e32 v2, vcc, v6, v1
	v_addc_co_u32_e32 v3, vcc, v7, v3, vcc
	global_load_dwordx2 v[2:3], v[2:3], off glc
	s_waitcnt vmcnt(0)
	global_atomic_cmpswap_x2 v[6:7], v0, v[2:5], s[6:7] offset:24 glc
	s_waitcnt vmcnt(0)
	buffer_invl2
	buffer_wbinvl1_vol
	v_cmp_ne_u64_e32 vcc, v[6:7], v[4:5]
	s_and_saveexec_b64 s[10:11], vcc
	s_cbranch_execz .LBB6_287
; %bb.284:
	s_mov_b64 s[12:13], 0
.LBB6_285:                              ; =>This Inner Loop Header: Depth=1
	s_sleep 1
	global_load_dwordx2 v[2:3], v0, s[6:7] offset:40
	global_load_dwordx2 v[8:9], v0, s[6:7]
	v_pk_mov_b32 v[4:5], v[6:7], v[6:7] op_sel:[0,1]
	s_waitcnt vmcnt(1)
	v_and_b32_e32 v2, v2, v4
	v_and_b32_e32 v1, v3, v5
	s_waitcnt vmcnt(0)
	v_mad_u64_u32 v[2:3], s[14:15], v2, 24, v[8:9]
	v_mov_b32_e32 v6, v3
	v_mad_u64_u32 v[6:7], s[14:15], v1, 24, v[6:7]
	v_mov_b32_e32 v3, v6
	global_load_dwordx2 v[2:3], v[2:3], off glc
	s_waitcnt vmcnt(0)
	global_atomic_cmpswap_x2 v[6:7], v0, v[2:5], s[6:7] offset:24 glc
	s_waitcnt vmcnt(0)
	buffer_invl2
	buffer_wbinvl1_vol
	v_cmp_eq_u64_e32 vcc, v[6:7], v[4:5]
	s_or_b64 s[12:13], vcc, s[12:13]
	s_andn2_b64 exec, exec, s[12:13]
	s_cbranch_execnz .LBB6_285
; %bb.286:
	s_or_b64 exec, exec, s[12:13]
.LBB6_287:
	s_or_b64 exec, exec, s[10:11]
.LBB6_288:
	s_or_b64 exec, exec, s[8:9]
	v_mov_b32_e32 v5, 0
	s_waitcnt lgkmcnt(0)
	global_load_dwordx2 v[8:9], v5, s[6:7] offset:40
	global_load_dwordx4 v[0:3], v5, s[6:7]
	v_readfirstlane_b32 s8, v6
	v_readfirstlane_b32 s9, v7
	s_mov_b64 s[10:11], exec
	s_waitcnt vmcnt(0)
	v_readfirstlane_b32 s12, v8
	v_readfirstlane_b32 s13, v9
	s_and_b64 s[12:13], s[8:9], s[12:13]
	s_mul_i32 s14, s13, 24
	s_mul_hi_u32 s15, s12, 24
	s_mul_i32 s16, s12, 24
	s_add_i32 s14, s15, s14
	v_mov_b32_e32 v4, s14
	v_add_co_u32_e32 v8, vcc, s16, v0
	v_addc_co_u32_e32 v9, vcc, v1, v4, vcc
	s_and_saveexec_b64 s[14:15], s[4:5]
	s_cbranch_execz .LBB6_290
; %bb.289:
	v_pk_mov_b32 v[10:11], s[10:11], s[10:11] op_sel:[0,1]
	v_mov_b32_e32 v12, 2
	v_mov_b32_e32 v13, 1
	global_store_dwordx4 v[8:9], v[10:13], off offset:8
.LBB6_290:
	s_or_b64 exec, exec, s[14:15]
	s_lshl_b64 s[10:11], s[12:13], 12
	v_mov_b32_e32 v4, s11
	v_add_co_u32_e32 v2, vcc, s10, v2
	v_addc_co_u32_e32 v3, vcc, v3, v4, vcc
	s_mov_b32 s12, 0
	v_lshlrev_b32_e32 v30, 6, v31
	v_add_co_u32_e32 v10, vcc, v2, v30
	v_mov_b32_e32 v4, 33
	v_mov_b32_e32 v6, v5
	;; [unrolled: 1-line block ×3, first 2 shown]
	v_readfirstlane_b32 s10, v2
	v_readfirstlane_b32 s11, v3
	s_mov_b32 s13, s12
	v_addc_co_u32_e32 v11, vcc, 0, v3, vcc
	s_mov_b32 s14, s12
	s_mov_b32 s15, s12
	s_nop 0
	global_store_dwordx4 v30, v[4:7], s[10:11]
	v_pk_mov_b32 v[2:3], s[12:13], s[12:13] op_sel:[0,1]
	v_pk_mov_b32 v[4:5], s[14:15], s[14:15] op_sel:[0,1]
	global_store_dwordx4 v30, v[2:5], s[10:11] offset:16
	global_store_dwordx4 v30, v[2:5], s[10:11] offset:32
	;; [unrolled: 1-line block ×3, first 2 shown]
	s_and_saveexec_b64 s[10:11], s[4:5]
	s_cbranch_execz .LBB6_298
; %bb.291:
	v_mov_b32_e32 v6, 0
	global_load_dwordx2 v[14:15], v6, s[6:7] offset:32 glc
	global_load_dwordx2 v[2:3], v6, s[6:7] offset:40
	v_mov_b32_e32 v12, s8
	v_mov_b32_e32 v13, s9
	s_waitcnt vmcnt(0)
	v_and_b32_e32 v2, s8, v2
	v_and_b32_e32 v3, s9, v3
	v_mul_lo_u32 v3, v3, 24
	v_mul_hi_u32 v4, v2, 24
	v_mul_lo_u32 v2, v2, 24
	v_add_u32_e32 v3, v4, v3
	v_add_co_u32_e32 v4, vcc, v0, v2
	v_addc_co_u32_e32 v5, vcc, v1, v3, vcc
	global_store_dwordx2 v[4:5], v[14:15], off
	buffer_wbl2
	s_waitcnt vmcnt(0)
	global_atomic_cmpswap_x2 v[2:3], v6, v[12:15], s[6:7] offset:32 glc
	s_waitcnt vmcnt(0)
	v_cmp_ne_u64_e32 vcc, v[2:3], v[14:15]
	s_and_saveexec_b64 s[12:13], vcc
	s_cbranch_execz .LBB6_294
; %bb.292:
	s_mov_b64 s[14:15], 0
.LBB6_293:                              ; =>This Inner Loop Header: Depth=1
	s_sleep 1
	global_store_dwordx2 v[4:5], v[2:3], off
	v_mov_b32_e32 v0, s8
	v_mov_b32_e32 v1, s9
	buffer_wbl2
	s_waitcnt vmcnt(0)
	global_atomic_cmpswap_x2 v[0:1], v6, v[0:3], s[6:7] offset:32 glc
	s_waitcnt vmcnt(0)
	v_cmp_eq_u64_e32 vcc, v[0:1], v[2:3]
	s_or_b64 s[14:15], vcc, s[14:15]
	v_pk_mov_b32 v[2:3], v[0:1], v[0:1] op_sel:[0,1]
	s_andn2_b64 exec, exec, s[14:15]
	s_cbranch_execnz .LBB6_293
.LBB6_294:
	s_or_b64 exec, exec, s[12:13]
	v_mov_b32_e32 v3, 0
	global_load_dwordx2 v[0:1], v3, s[6:7] offset:16
	s_mov_b64 s[12:13], exec
	v_mbcnt_lo_u32_b32 v2, s12, 0
	v_mbcnt_hi_u32_b32 v2, s13, v2
	v_cmp_eq_u32_e32 vcc, 0, v2
	s_and_saveexec_b64 s[14:15], vcc
	s_cbranch_execz .LBB6_296
; %bb.295:
	s_bcnt1_i32_b64 s12, s[12:13]
	v_mov_b32_e32 v2, s12
	buffer_wbl2
	s_waitcnt vmcnt(0)
	global_atomic_add_x2 v[0:1], v[2:3], off offset:8
.LBB6_296:
	s_or_b64 exec, exec, s[14:15]
	s_waitcnt vmcnt(0)
	global_load_dwordx2 v[2:3], v[0:1], off offset:16
	s_waitcnt vmcnt(0)
	v_cmp_eq_u64_e32 vcc, 0, v[2:3]
	s_cbranch_vccnz .LBB6_298
; %bb.297:
	global_load_dword v0, v[0:1], off offset:24
	v_mov_b32_e32 v1, 0
	buffer_wbl2
	s_waitcnt vmcnt(0)
	global_store_dwordx2 v[2:3], v[0:1], off
	v_and_b32_e32 v0, 0xffffff, v0
	v_readfirstlane_b32 m0, v0
	s_sendmsg sendmsg(MSG_INTERRUPT)
.LBB6_298:
	s_or_b64 exec, exec, s[10:11]
	s_branch .LBB6_300
.LBB6_299:
	s_branch .LBB6_304
.LBB6_300:                              ; =>This Inner Loop Header: Depth=1
	v_mov_b32_e32 v0, 1
	s_and_saveexec_b64 s[10:11], s[4:5]
	s_cbranch_execz .LBB6_302
; %bb.301:                              ;   in Loop: Header=BB6_300 Depth=1
	global_load_dword v0, v[8:9], off offset:20 glc
	s_waitcnt vmcnt(0)
	buffer_invl2
	buffer_wbinvl1_vol
	v_and_b32_e32 v0, 1, v0
.LBB6_302:                              ;   in Loop: Header=BB6_300 Depth=1
	s_or_b64 exec, exec, s[10:11]
	v_readfirstlane_b32 s10, v0
	s_cmp_eq_u32 s10, 0
	s_cbranch_scc1 .LBB6_299
; %bb.303:                              ;   in Loop: Header=BB6_300 Depth=1
	s_sleep 1
	s_cbranch_execnz .LBB6_300
.LBB6_304:
	global_load_dwordx2 v[0:1], v[10:11], off
	s_and_saveexec_b64 s[10:11], s[4:5]
	s_cbranch_execz .LBB6_307
; %bb.305:
	v_mov_b32_e32 v8, 0
	global_load_dwordx2 v[6:7], v8, s[6:7] offset:40
	global_load_dwordx2 v[10:11], v8, s[6:7] offset:24 glc
	global_load_dwordx2 v[12:13], v8, s[6:7]
	v_mov_b32_e32 v3, s9
	s_mov_b64 s[4:5], 0
	s_waitcnt vmcnt(2)
	v_add_co_u32_e32 v5, vcc, 1, v6
	v_addc_co_u32_e32 v9, vcc, 0, v7, vcc
	v_add_co_u32_e32 v2, vcc, s8, v5
	v_addc_co_u32_e32 v3, vcc, v9, v3, vcc
	v_cmp_eq_u64_e32 vcc, 0, v[2:3]
	v_cndmask_b32_e32 v3, v3, v9, vcc
	v_cndmask_b32_e32 v2, v2, v5, vcc
	v_and_b32_e32 v5, v3, v7
	v_and_b32_e32 v6, v2, v6
	v_mul_lo_u32 v5, v5, 24
	v_mul_hi_u32 v7, v6, 24
	v_mul_lo_u32 v6, v6, 24
	v_add_u32_e32 v5, v7, v5
	s_waitcnt vmcnt(0)
	v_add_co_u32_e32 v6, vcc, v12, v6
	v_addc_co_u32_e32 v7, vcc, v13, v5, vcc
	v_mov_b32_e32 v4, v10
	global_store_dwordx2 v[6:7], v[10:11], off
	v_mov_b32_e32 v5, v11
	buffer_wbl2
	s_waitcnt vmcnt(0)
	global_atomic_cmpswap_x2 v[4:5], v8, v[2:5], s[6:7] offset:24 glc
	s_waitcnt vmcnt(0)
	v_cmp_ne_u64_e32 vcc, v[4:5], v[10:11]
	s_and_b64 exec, exec, vcc
	s_cbranch_execz .LBB6_307
.LBB6_306:                              ; =>This Inner Loop Header: Depth=1
	s_sleep 1
	global_store_dwordx2 v[6:7], v[4:5], off
	buffer_wbl2
	s_waitcnt vmcnt(0)
	global_atomic_cmpswap_x2 v[10:11], v8, v[2:5], s[6:7] offset:24 glc
	s_waitcnt vmcnt(0)
	v_cmp_eq_u64_e32 vcc, v[10:11], v[4:5]
	s_or_b64 s[4:5], vcc, s[4:5]
	v_pk_mov_b32 v[4:5], v[10:11], v[10:11] op_sel:[0,1]
	s_andn2_b64 exec, exec, s[4:5]
	s_cbranch_execnz .LBB6_306
.LBB6_307:
	s_or_b64 exec, exec, s[10:11]
	s_getpc_b64 s[8:9]
	s_add_u32 s8, s8, .str.28@rel32@lo+4
	s_addc_u32 s9, s9, .str.28@rel32@hi+12
	s_cmp_lg_u64 s[8:9], 0
	s_cbranch_scc0 .LBB6_399
; %bb.308:
	s_waitcnt vmcnt(0)
	v_and_b32_e32 v6, -3, v0
	v_mov_b32_e32 v7, v1
	s_mov_b64 s[10:11], 35
	v_mov_b32_e32 v27, 0
	v_mov_b32_e32 v4, 2
	;; [unrolled: 1-line block ×3, first 2 shown]
	s_branch .LBB6_310
.LBB6_309:                              ;   in Loop: Header=BB6_310 Depth=1
	s_or_b64 exec, exec, s[16:17]
	s_sub_u32 s10, s10, s12
	s_subb_u32 s11, s11, s13
	s_add_u32 s8, s8, s12
	s_addc_u32 s9, s9, s13
	s_cmp_lg_u64 s[10:11], 0
	s_cbranch_scc0 .LBB6_398
.LBB6_310:                              ; =>This Loop Header: Depth=1
                                        ;     Child Loop BB6_313 Depth 2
                                        ;     Child Loop BB6_321 Depth 2
	;; [unrolled: 1-line block ×11, first 2 shown]
	v_cmp_lt_u64_e64 s[4:5], s[10:11], 56
	s_and_b64 s[4:5], s[4:5], exec
	v_cmp_gt_u64_e64 s[4:5], s[10:11], 7
	s_cselect_b32 s13, s11, 0
	s_cselect_b32 s12, s10, 56
	s_and_b64 vcc, exec, s[4:5]
	s_cbranch_vccnz .LBB6_315
; %bb.311:                              ;   in Loop: Header=BB6_310 Depth=1
	s_mov_b64 s[4:5], 0
	s_cmp_eq_u64 s[10:11], 0
	s_waitcnt vmcnt(0)
	v_pk_mov_b32 v[8:9], 0, 0
	s_cbranch_scc1 .LBB6_314
; %bb.312:                              ;   in Loop: Header=BB6_310 Depth=1
	s_lshl_b64 s[14:15], s[12:13], 3
	s_mov_b64 s[16:17], 0
	v_pk_mov_b32 v[8:9], 0, 0
	s_mov_b64 s[18:19], s[8:9]
.LBB6_313:                              ;   Parent Loop BB6_310 Depth=1
                                        ; =>  This Inner Loop Header: Depth=2
	global_load_ubyte v2, v27, s[18:19]
	s_waitcnt vmcnt(0)
	v_and_b32_e32 v26, 0xffff, v2
	v_lshlrev_b64 v[2:3], s16, v[26:27]
	s_add_u32 s16, s16, 8
	s_addc_u32 s17, s17, 0
	s_add_u32 s18, s18, 1
	s_addc_u32 s19, s19, 0
	v_or_b32_e32 v8, v2, v8
	s_cmp_lg_u32 s14, s16
	v_or_b32_e32 v9, v3, v9
	s_cbranch_scc1 .LBB6_313
.LBB6_314:                              ;   in Loop: Header=BB6_310 Depth=1
	s_mov_b32 s18, 0
	s_branch .LBB6_316
.LBB6_315:                              ;   in Loop: Header=BB6_310 Depth=1
	s_mov_b64 s[4:5], -1
                                        ; implicit-def: $sgpr18
.LBB6_316:                              ;   in Loop: Header=BB6_310 Depth=1
	s_andn2_b64 vcc, exec, s[4:5]
	s_mov_b64 s[4:5], s[8:9]
	s_cbranch_vccnz .LBB6_318
; %bb.317:                              ;   in Loop: Header=BB6_310 Depth=1
	global_load_dwordx2 v[8:9], v27, s[8:9]
	s_add_i32 s18, s12, -8
	s_add_u32 s4, s8, 8
	s_addc_u32 s5, s9, 0
.LBB6_318:                              ;   in Loop: Header=BB6_310 Depth=1
	s_cmp_gt_u32 s18, 7
	s_cbranch_scc1 .LBB6_322
; %bb.319:                              ;   in Loop: Header=BB6_310 Depth=1
	s_cmp_eq_u32 s18, 0
	s_cbranch_scc1 .LBB6_323
; %bb.320:                              ;   in Loop: Header=BB6_310 Depth=1
	s_mov_b64 s[14:15], 0
	v_pk_mov_b32 v[10:11], 0, 0
	s_mov_b64 s[16:17], 0
.LBB6_321:                              ;   Parent Loop BB6_310 Depth=1
                                        ; =>  This Inner Loop Header: Depth=2
	s_add_u32 s20, s4, s16
	s_addc_u32 s21, s5, s17
	global_load_ubyte v2, v27, s[20:21]
	s_add_u32 s16, s16, 1
	s_addc_u32 s17, s17, 0
	s_waitcnt vmcnt(0)
	v_and_b32_e32 v26, 0xffff, v2
	v_lshlrev_b64 v[2:3], s14, v[26:27]
	s_add_u32 s14, s14, 8
	s_addc_u32 s15, s15, 0
	v_or_b32_e32 v10, v2, v10
	s_cmp_lg_u32 s18, s16
	v_or_b32_e32 v11, v3, v11
	s_cbranch_scc1 .LBB6_321
	s_branch .LBB6_324
.LBB6_322:                              ;   in Loop: Header=BB6_310 Depth=1
	s_mov_b64 s[14:15], -1
                                        ; implicit-def: $vgpr10_vgpr11
                                        ; implicit-def: $sgpr19
	s_branch .LBB6_325
.LBB6_323:                              ;   in Loop: Header=BB6_310 Depth=1
	v_pk_mov_b32 v[10:11], 0, 0
.LBB6_324:                              ;   in Loop: Header=BB6_310 Depth=1
	s_mov_b64 s[14:15], 0
	s_mov_b32 s19, 0
.LBB6_325:                              ;   in Loop: Header=BB6_310 Depth=1
	s_andn2_b64 vcc, exec, s[14:15]
	s_cbranch_vccnz .LBB6_327
; %bb.326:                              ;   in Loop: Header=BB6_310 Depth=1
	global_load_dwordx2 v[10:11], v27, s[4:5]
	s_add_i32 s19, s18, -8
	s_add_u32 s4, s4, 8
	s_addc_u32 s5, s5, 0
.LBB6_327:                              ;   in Loop: Header=BB6_310 Depth=1
	s_cmp_gt_u32 s19, 7
	s_cbranch_scc1 .LBB6_331
; %bb.328:                              ;   in Loop: Header=BB6_310 Depth=1
	s_cmp_eq_u32 s19, 0
	s_cbranch_scc1 .LBB6_332
; %bb.329:                              ;   in Loop: Header=BB6_310 Depth=1
	s_mov_b64 s[14:15], 0
	v_pk_mov_b32 v[12:13], 0, 0
	s_mov_b64 s[16:17], 0
.LBB6_330:                              ;   Parent Loop BB6_310 Depth=1
                                        ; =>  This Inner Loop Header: Depth=2
	s_add_u32 s20, s4, s16
	s_addc_u32 s21, s5, s17
	global_load_ubyte v2, v27, s[20:21]
	s_add_u32 s16, s16, 1
	s_addc_u32 s17, s17, 0
	s_waitcnt vmcnt(0)
	v_and_b32_e32 v26, 0xffff, v2
	v_lshlrev_b64 v[2:3], s14, v[26:27]
	s_add_u32 s14, s14, 8
	s_addc_u32 s15, s15, 0
	v_or_b32_e32 v12, v2, v12
	s_cmp_lg_u32 s19, s16
	v_or_b32_e32 v13, v3, v13
	s_cbranch_scc1 .LBB6_330
	s_branch .LBB6_333
.LBB6_331:                              ;   in Loop: Header=BB6_310 Depth=1
	s_mov_b64 s[14:15], -1
                                        ; implicit-def: $sgpr18
	s_branch .LBB6_334
.LBB6_332:                              ;   in Loop: Header=BB6_310 Depth=1
	v_pk_mov_b32 v[12:13], 0, 0
.LBB6_333:                              ;   in Loop: Header=BB6_310 Depth=1
	s_mov_b64 s[14:15], 0
	s_mov_b32 s18, 0
.LBB6_334:                              ;   in Loop: Header=BB6_310 Depth=1
	s_andn2_b64 vcc, exec, s[14:15]
	s_cbranch_vccnz .LBB6_336
; %bb.335:                              ;   in Loop: Header=BB6_310 Depth=1
	global_load_dwordx2 v[12:13], v27, s[4:5]
	s_add_i32 s18, s19, -8
	s_add_u32 s4, s4, 8
	s_addc_u32 s5, s5, 0
.LBB6_336:                              ;   in Loop: Header=BB6_310 Depth=1
	s_cmp_gt_u32 s18, 7
	s_cbranch_scc1 .LBB6_340
; %bb.337:                              ;   in Loop: Header=BB6_310 Depth=1
	s_cmp_eq_u32 s18, 0
	s_cbranch_scc1 .LBB6_341
; %bb.338:                              ;   in Loop: Header=BB6_310 Depth=1
	s_mov_b64 s[14:15], 0
	v_pk_mov_b32 v[14:15], 0, 0
	s_mov_b64 s[16:17], 0
.LBB6_339:                              ;   Parent Loop BB6_310 Depth=1
                                        ; =>  This Inner Loop Header: Depth=2
	s_add_u32 s20, s4, s16
	s_addc_u32 s21, s5, s17
	global_load_ubyte v2, v27, s[20:21]
	s_add_u32 s16, s16, 1
	s_addc_u32 s17, s17, 0
	s_waitcnt vmcnt(0)
	v_and_b32_e32 v26, 0xffff, v2
	v_lshlrev_b64 v[2:3], s14, v[26:27]
	s_add_u32 s14, s14, 8
	s_addc_u32 s15, s15, 0
	v_or_b32_e32 v14, v2, v14
	s_cmp_lg_u32 s18, s16
	v_or_b32_e32 v15, v3, v15
	s_cbranch_scc1 .LBB6_339
	s_branch .LBB6_342
.LBB6_340:                              ;   in Loop: Header=BB6_310 Depth=1
	s_mov_b64 s[14:15], -1
                                        ; implicit-def: $vgpr14_vgpr15
                                        ; implicit-def: $sgpr19
	s_branch .LBB6_343
.LBB6_341:                              ;   in Loop: Header=BB6_310 Depth=1
	v_pk_mov_b32 v[14:15], 0, 0
.LBB6_342:                              ;   in Loop: Header=BB6_310 Depth=1
	s_mov_b64 s[14:15], 0
	s_mov_b32 s19, 0
.LBB6_343:                              ;   in Loop: Header=BB6_310 Depth=1
	s_andn2_b64 vcc, exec, s[14:15]
	s_cbranch_vccnz .LBB6_345
; %bb.344:                              ;   in Loop: Header=BB6_310 Depth=1
	global_load_dwordx2 v[14:15], v27, s[4:5]
	s_add_i32 s19, s18, -8
	s_add_u32 s4, s4, 8
	s_addc_u32 s5, s5, 0
.LBB6_345:                              ;   in Loop: Header=BB6_310 Depth=1
	s_cmp_gt_u32 s19, 7
	s_cbranch_scc1 .LBB6_349
; %bb.346:                              ;   in Loop: Header=BB6_310 Depth=1
	s_cmp_eq_u32 s19, 0
	s_cbranch_scc1 .LBB6_350
; %bb.347:                              ;   in Loop: Header=BB6_310 Depth=1
	s_mov_b64 s[14:15], 0
	v_pk_mov_b32 v[16:17], 0, 0
	s_mov_b64 s[16:17], 0
.LBB6_348:                              ;   Parent Loop BB6_310 Depth=1
                                        ; =>  This Inner Loop Header: Depth=2
	s_add_u32 s20, s4, s16
	s_addc_u32 s21, s5, s17
	global_load_ubyte v2, v27, s[20:21]
	s_add_u32 s16, s16, 1
	s_addc_u32 s17, s17, 0
	s_waitcnt vmcnt(0)
	v_and_b32_e32 v26, 0xffff, v2
	v_lshlrev_b64 v[2:3], s14, v[26:27]
	s_add_u32 s14, s14, 8
	s_addc_u32 s15, s15, 0
	v_or_b32_e32 v16, v2, v16
	s_cmp_lg_u32 s19, s16
	v_or_b32_e32 v17, v3, v17
	s_cbranch_scc1 .LBB6_348
	s_branch .LBB6_351
.LBB6_349:                              ;   in Loop: Header=BB6_310 Depth=1
	s_mov_b64 s[14:15], -1
                                        ; implicit-def: $sgpr18
	s_branch .LBB6_352
.LBB6_350:                              ;   in Loop: Header=BB6_310 Depth=1
	v_pk_mov_b32 v[16:17], 0, 0
.LBB6_351:                              ;   in Loop: Header=BB6_310 Depth=1
	s_mov_b64 s[14:15], 0
	s_mov_b32 s18, 0
.LBB6_352:                              ;   in Loop: Header=BB6_310 Depth=1
	s_andn2_b64 vcc, exec, s[14:15]
	s_cbranch_vccnz .LBB6_354
; %bb.353:                              ;   in Loop: Header=BB6_310 Depth=1
	global_load_dwordx2 v[16:17], v27, s[4:5]
	s_add_i32 s18, s19, -8
	s_add_u32 s4, s4, 8
	s_addc_u32 s5, s5, 0
.LBB6_354:                              ;   in Loop: Header=BB6_310 Depth=1
	s_cmp_gt_u32 s18, 7
	s_cbranch_scc1 .LBB6_358
; %bb.355:                              ;   in Loop: Header=BB6_310 Depth=1
	s_cmp_eq_u32 s18, 0
	s_cbranch_scc1 .LBB6_359
; %bb.356:                              ;   in Loop: Header=BB6_310 Depth=1
	s_mov_b64 s[14:15], 0
	v_pk_mov_b32 v[18:19], 0, 0
	s_mov_b64 s[16:17], 0
.LBB6_357:                              ;   Parent Loop BB6_310 Depth=1
                                        ; =>  This Inner Loop Header: Depth=2
	s_add_u32 s20, s4, s16
	s_addc_u32 s21, s5, s17
	global_load_ubyte v2, v27, s[20:21]
	s_add_u32 s16, s16, 1
	s_addc_u32 s17, s17, 0
	s_waitcnt vmcnt(0)
	v_and_b32_e32 v26, 0xffff, v2
	v_lshlrev_b64 v[2:3], s14, v[26:27]
	s_add_u32 s14, s14, 8
	s_addc_u32 s15, s15, 0
	v_or_b32_e32 v18, v2, v18
	s_cmp_lg_u32 s18, s16
	v_or_b32_e32 v19, v3, v19
	s_cbranch_scc1 .LBB6_357
	s_branch .LBB6_360
.LBB6_358:                              ;   in Loop: Header=BB6_310 Depth=1
	s_mov_b64 s[14:15], -1
                                        ; implicit-def: $vgpr18_vgpr19
                                        ; implicit-def: $sgpr19
	s_branch .LBB6_361
.LBB6_359:                              ;   in Loop: Header=BB6_310 Depth=1
	v_pk_mov_b32 v[18:19], 0, 0
.LBB6_360:                              ;   in Loop: Header=BB6_310 Depth=1
	s_mov_b64 s[14:15], 0
	s_mov_b32 s19, 0
.LBB6_361:                              ;   in Loop: Header=BB6_310 Depth=1
	s_andn2_b64 vcc, exec, s[14:15]
	s_cbranch_vccnz .LBB6_363
; %bb.362:                              ;   in Loop: Header=BB6_310 Depth=1
	global_load_dwordx2 v[18:19], v27, s[4:5]
	s_add_i32 s19, s18, -8
	s_add_u32 s4, s4, 8
	s_addc_u32 s5, s5, 0
.LBB6_363:                              ;   in Loop: Header=BB6_310 Depth=1
	s_cmp_gt_u32 s19, 7
	s_cbranch_scc1 .LBB6_367
; %bb.364:                              ;   in Loop: Header=BB6_310 Depth=1
	s_cmp_eq_u32 s19, 0
	s_cbranch_scc1 .LBB6_368
; %bb.365:                              ;   in Loop: Header=BB6_310 Depth=1
	s_mov_b64 s[14:15], 0
	v_pk_mov_b32 v[20:21], 0, 0
	s_mov_b64 s[16:17], s[4:5]
.LBB6_366:                              ;   Parent Loop BB6_310 Depth=1
                                        ; =>  This Inner Loop Header: Depth=2
	global_load_ubyte v2, v27, s[16:17]
	s_add_i32 s19, s19, -1
	s_waitcnt vmcnt(0)
	v_and_b32_e32 v26, 0xffff, v2
	v_lshlrev_b64 v[2:3], s14, v[26:27]
	s_add_u32 s14, s14, 8
	s_addc_u32 s15, s15, 0
	s_add_u32 s16, s16, 1
	s_addc_u32 s17, s17, 0
	v_or_b32_e32 v20, v2, v20
	s_cmp_lg_u32 s19, 0
	v_or_b32_e32 v21, v3, v21
	s_cbranch_scc1 .LBB6_366
	s_branch .LBB6_369
.LBB6_367:                              ;   in Loop: Header=BB6_310 Depth=1
	s_mov_b64 s[14:15], -1
	s_branch .LBB6_370
.LBB6_368:                              ;   in Loop: Header=BB6_310 Depth=1
	v_pk_mov_b32 v[20:21], 0, 0
.LBB6_369:                              ;   in Loop: Header=BB6_310 Depth=1
	s_mov_b64 s[14:15], 0
.LBB6_370:                              ;   in Loop: Header=BB6_310 Depth=1
	s_andn2_b64 vcc, exec, s[14:15]
	s_cbranch_vccnz .LBB6_372
; %bb.371:                              ;   in Loop: Header=BB6_310 Depth=1
	global_load_dwordx2 v[20:21], v27, s[4:5]
.LBB6_372:                              ;   in Loop: Header=BB6_310 Depth=1
	v_readfirstlane_b32 s4, v31
	v_cmp_eq_u32_e64 s[4:5], s4, v31
	v_pk_mov_b32 v[2:3], 0, 0
	s_and_saveexec_b64 s[14:15], s[4:5]
	s_cbranch_execz .LBB6_378
; %bb.373:                              ;   in Loop: Header=BB6_310 Depth=1
	global_load_dwordx2 v[24:25], v27, s[6:7] offset:24 glc
	s_waitcnt vmcnt(0)
	buffer_invl2
	buffer_wbinvl1_vol
	global_load_dwordx2 v[2:3], v27, s[6:7] offset:40
	global_load_dwordx2 v[22:23], v27, s[6:7]
	s_waitcnt vmcnt(1)
	v_and_b32_e32 v2, v2, v24
	v_and_b32_e32 v3, v3, v25
	v_mul_lo_u32 v3, v3, 24
	v_mul_hi_u32 v26, v2, 24
	v_mul_lo_u32 v2, v2, 24
	v_add_u32_e32 v3, v26, v3
	s_waitcnt vmcnt(0)
	v_add_co_u32_e32 v2, vcc, v22, v2
	v_addc_co_u32_e32 v3, vcc, v23, v3, vcc
	global_load_dwordx2 v[22:23], v[2:3], off glc
	s_waitcnt vmcnt(0)
	global_atomic_cmpswap_x2 v[2:3], v27, v[22:25], s[6:7] offset:24 glc
	s_waitcnt vmcnt(0)
	buffer_invl2
	buffer_wbinvl1_vol
	v_cmp_ne_u64_e32 vcc, v[2:3], v[24:25]
	s_and_saveexec_b64 s[16:17], vcc
	s_cbranch_execz .LBB6_377
; %bb.374:                              ;   in Loop: Header=BB6_310 Depth=1
	s_mov_b64 s[18:19], 0
.LBB6_375:                              ;   Parent Loop BB6_310 Depth=1
                                        ; =>  This Inner Loop Header: Depth=2
	s_sleep 1
	global_load_dwordx2 v[22:23], v27, s[6:7] offset:40
	global_load_dwordx2 v[28:29], v27, s[6:7]
	v_pk_mov_b32 v[24:25], v[2:3], v[2:3] op_sel:[0,1]
	s_waitcnt vmcnt(1)
	v_and_b32_e32 v2, v22, v24
	s_waitcnt vmcnt(0)
	v_mad_u64_u32 v[2:3], s[20:21], v2, 24, v[28:29]
	v_and_b32_e32 v23, v23, v25
	v_mov_b32_e32 v22, v3
	v_mad_u64_u32 v[22:23], s[20:21], v23, 24, v[22:23]
	v_mov_b32_e32 v3, v22
	global_load_dwordx2 v[22:23], v[2:3], off glc
	s_waitcnt vmcnt(0)
	global_atomic_cmpswap_x2 v[2:3], v27, v[22:25], s[6:7] offset:24 glc
	s_waitcnt vmcnt(0)
	buffer_invl2
	buffer_wbinvl1_vol
	v_cmp_eq_u64_e32 vcc, v[2:3], v[24:25]
	s_or_b64 s[18:19], vcc, s[18:19]
	s_andn2_b64 exec, exec, s[18:19]
	s_cbranch_execnz .LBB6_375
; %bb.376:                              ;   in Loop: Header=BB6_310 Depth=1
	s_or_b64 exec, exec, s[18:19]
.LBB6_377:                              ;   in Loop: Header=BB6_310 Depth=1
	s_or_b64 exec, exec, s[16:17]
.LBB6_378:                              ;   in Loop: Header=BB6_310 Depth=1
	s_or_b64 exec, exec, s[14:15]
	global_load_dwordx2 v[28:29], v27, s[6:7] offset:40
	global_load_dwordx4 v[22:25], v27, s[6:7]
	v_readfirstlane_b32 s14, v2
	v_readfirstlane_b32 s15, v3
	s_mov_b64 s[16:17], exec
	s_waitcnt vmcnt(1)
	v_readfirstlane_b32 s18, v28
	v_readfirstlane_b32 s19, v29
	s_and_b64 s[18:19], s[14:15], s[18:19]
	s_mul_i32 s20, s19, 24
	s_mul_hi_u32 s21, s18, 24
	s_mul_i32 s22, s18, 24
	s_add_i32 s20, s21, s20
	v_mov_b32_e32 v2, s20
	s_waitcnt vmcnt(0)
	v_add_co_u32_e32 v28, vcc, s22, v22
	v_addc_co_u32_e32 v29, vcc, v23, v2, vcc
	s_and_saveexec_b64 s[20:21], s[4:5]
	s_cbranch_execz .LBB6_380
; %bb.379:                              ;   in Loop: Header=BB6_310 Depth=1
	v_pk_mov_b32 v[2:3], s[16:17], s[16:17] op_sel:[0,1]
	global_store_dwordx4 v[28:29], v[2:5], off offset:8
.LBB6_380:                              ;   in Loop: Header=BB6_310 Depth=1
	s_or_b64 exec, exec, s[20:21]
	s_lshl_b64 s[16:17], s[18:19], 12
	v_mov_b32_e32 v3, s17
	v_add_co_u32_e32 v2, vcc, s16, v24
	v_addc_co_u32_e32 v3, vcc, v25, v3, vcc
	v_or_b32_e32 v24, 2, v6
	v_cmp_gt_u64_e64 vcc, s[10:11], 56
	s_lshl_b32 s16, s12, 2
	v_cndmask_b32_e32 v6, v24, v6, vcc
	s_add_i32 s16, s16, 28
	s_and_b32 s16, s16, 0x1e0
	v_and_b32_e32 v6, 0xffffff1f, v6
	v_or_b32_e32 v6, s16, v6
	v_readfirstlane_b32 s16, v2
	v_readfirstlane_b32 s17, v3
	s_nop 4
	global_store_dwordx4 v30, v[6:9], s[16:17]
	global_store_dwordx4 v30, v[10:13], s[16:17] offset:16
	global_store_dwordx4 v30, v[14:17], s[16:17] offset:32
	;; [unrolled: 1-line block ×3, first 2 shown]
	s_and_saveexec_b64 s[16:17], s[4:5]
	s_cbranch_execz .LBB6_388
; %bb.381:                              ;   in Loop: Header=BB6_310 Depth=1
	global_load_dwordx2 v[14:15], v27, s[6:7] offset:32 glc
	global_load_dwordx2 v[6:7], v27, s[6:7] offset:40
	v_mov_b32_e32 v12, s14
	v_mov_b32_e32 v13, s15
	s_waitcnt vmcnt(0)
	v_readfirstlane_b32 s18, v6
	v_readfirstlane_b32 s19, v7
	s_and_b64 s[18:19], s[18:19], s[14:15]
	s_mul_i32 s19, s19, 24
	s_mul_hi_u32 s20, s18, 24
	s_mul_i32 s18, s18, 24
	s_add_i32 s19, s20, s19
	v_mov_b32_e32 v6, s19
	v_add_co_u32_e32 v10, vcc, s18, v22
	v_addc_co_u32_e32 v11, vcc, v23, v6, vcc
	global_store_dwordx2 v[10:11], v[14:15], off
	buffer_wbl2
	s_waitcnt vmcnt(0)
	global_atomic_cmpswap_x2 v[8:9], v27, v[12:15], s[6:7] offset:32 glc
	s_waitcnt vmcnt(0)
	v_cmp_ne_u64_e32 vcc, v[8:9], v[14:15]
	s_and_saveexec_b64 s[18:19], vcc
	s_cbranch_execz .LBB6_384
; %bb.382:                              ;   in Loop: Header=BB6_310 Depth=1
	s_mov_b64 s[20:21], 0
.LBB6_383:                              ;   Parent Loop BB6_310 Depth=1
                                        ; =>  This Inner Loop Header: Depth=2
	s_sleep 1
	global_store_dwordx2 v[10:11], v[8:9], off
	v_mov_b32_e32 v6, s14
	v_mov_b32_e32 v7, s15
	buffer_wbl2
	s_waitcnt vmcnt(0)
	global_atomic_cmpswap_x2 v[6:7], v27, v[6:9], s[6:7] offset:32 glc
	s_waitcnt vmcnt(0)
	v_cmp_eq_u64_e32 vcc, v[6:7], v[8:9]
	s_or_b64 s[20:21], vcc, s[20:21]
	v_pk_mov_b32 v[8:9], v[6:7], v[6:7] op_sel:[0,1]
	s_andn2_b64 exec, exec, s[20:21]
	s_cbranch_execnz .LBB6_383
.LBB6_384:                              ;   in Loop: Header=BB6_310 Depth=1
	s_or_b64 exec, exec, s[18:19]
	global_load_dwordx2 v[6:7], v27, s[6:7] offset:16
	s_mov_b64 s[20:21], exec
	v_mbcnt_lo_u32_b32 v8, s20, 0
	v_mbcnt_hi_u32_b32 v8, s21, v8
	v_cmp_eq_u32_e32 vcc, 0, v8
	s_and_saveexec_b64 s[18:19], vcc
	s_cbranch_execz .LBB6_386
; %bb.385:                              ;   in Loop: Header=BB6_310 Depth=1
	s_bcnt1_i32_b64 s20, s[20:21]
	v_mov_b32_e32 v26, s20
	buffer_wbl2
	s_waitcnt vmcnt(0)
	global_atomic_add_x2 v[6:7], v[26:27], off offset:8
.LBB6_386:                              ;   in Loop: Header=BB6_310 Depth=1
	s_or_b64 exec, exec, s[18:19]
	s_waitcnt vmcnt(0)
	global_load_dwordx2 v[8:9], v[6:7], off offset:16
	s_waitcnt vmcnt(0)
	v_cmp_eq_u64_e32 vcc, 0, v[8:9]
	s_cbranch_vccnz .LBB6_388
; %bb.387:                              ;   in Loop: Header=BB6_310 Depth=1
	global_load_dword v26, v[6:7], off offset:24
	s_waitcnt vmcnt(0)
	v_and_b32_e32 v6, 0xffffff, v26
	v_readfirstlane_b32 m0, v6
	buffer_wbl2
	global_store_dwordx2 v[8:9], v[26:27], off
	s_sendmsg sendmsg(MSG_INTERRUPT)
.LBB6_388:                              ;   in Loop: Header=BB6_310 Depth=1
	s_or_b64 exec, exec, s[16:17]
	v_add_co_u32_e32 v2, vcc, v2, v30
	v_addc_co_u32_e32 v3, vcc, 0, v3, vcc
	s_branch .LBB6_390
.LBB6_389:                              ;   in Loop: Header=BB6_310 Depth=1
	s_branch .LBB6_394
.LBB6_390:                              ;   Parent Loop BB6_310 Depth=1
                                        ; =>  This Inner Loop Header: Depth=2
	v_mov_b32_e32 v6, 1
	s_and_saveexec_b64 s[16:17], s[4:5]
	s_cbranch_execz .LBB6_392
; %bb.391:                              ;   in Loop: Header=BB6_390 Depth=2
	global_load_dword v6, v[28:29], off offset:20 glc
	s_waitcnt vmcnt(0)
	buffer_invl2
	buffer_wbinvl1_vol
	v_and_b32_e32 v6, 1, v6
.LBB6_392:                              ;   in Loop: Header=BB6_390 Depth=2
	s_or_b64 exec, exec, s[16:17]
	v_readfirstlane_b32 s16, v6
	s_cmp_eq_u32 s16, 0
	s_cbranch_scc1 .LBB6_389
; %bb.393:                              ;   in Loop: Header=BB6_390 Depth=2
	s_sleep 1
	s_cbranch_execnz .LBB6_390
.LBB6_394:                              ;   in Loop: Header=BB6_310 Depth=1
	global_load_dwordx4 v[6:9], v[2:3], off
	s_and_saveexec_b64 s[16:17], s[4:5]
	s_cbranch_execz .LBB6_309
; %bb.395:                              ;   in Loop: Header=BB6_310 Depth=1
	global_load_dwordx2 v[2:3], v27, s[6:7] offset:40
	global_load_dwordx2 v[12:13], v27, s[6:7] offset:24 glc
	global_load_dwordx2 v[14:15], v27, s[6:7]
	s_waitcnt vmcnt(3)
	v_mov_b32_e32 v9, s15
	s_waitcnt vmcnt(2)
	v_add_co_u32_e32 v11, vcc, 1, v2
	v_addc_co_u32_e32 v16, vcc, 0, v3, vcc
	v_add_co_u32_e32 v8, vcc, s14, v11
	v_addc_co_u32_e32 v9, vcc, v16, v9, vcc
	v_cmp_eq_u64_e32 vcc, 0, v[8:9]
	v_cndmask_b32_e32 v9, v9, v16, vcc
	v_cndmask_b32_e32 v8, v8, v11, vcc
	v_and_b32_e32 v3, v9, v3
	v_and_b32_e32 v2, v8, v2
	v_mul_lo_u32 v3, v3, 24
	v_mul_hi_u32 v11, v2, 24
	v_mul_lo_u32 v2, v2, 24
	v_add_u32_e32 v3, v11, v3
	s_waitcnt vmcnt(0)
	v_add_co_u32_e32 v2, vcc, v14, v2
	v_addc_co_u32_e32 v3, vcc, v15, v3, vcc
	v_mov_b32_e32 v10, v12
	global_store_dwordx2 v[2:3], v[12:13], off
	v_mov_b32_e32 v11, v13
	buffer_wbl2
	s_waitcnt vmcnt(0)
	global_atomic_cmpswap_x2 v[10:11], v27, v[8:11], s[6:7] offset:24 glc
	s_waitcnt vmcnt(0)
	v_cmp_ne_u64_e32 vcc, v[10:11], v[12:13]
	s_and_b64 exec, exec, vcc
	s_cbranch_execz .LBB6_309
; %bb.396:                              ;   in Loop: Header=BB6_310 Depth=1
	s_mov_b64 s[4:5], 0
.LBB6_397:                              ;   Parent Loop BB6_310 Depth=1
                                        ; =>  This Inner Loop Header: Depth=2
	s_sleep 1
	global_store_dwordx2 v[2:3], v[10:11], off
	buffer_wbl2
	s_waitcnt vmcnt(0)
	global_atomic_cmpswap_x2 v[12:13], v27, v[8:11], s[6:7] offset:24 glc
	s_waitcnt vmcnt(0)
	v_cmp_eq_u64_e32 vcc, v[12:13], v[10:11]
	s_or_b64 s[4:5], vcc, s[4:5]
	v_pk_mov_b32 v[10:11], v[12:13], v[12:13] op_sel:[0,1]
	s_andn2_b64 exec, exec, s[4:5]
	s_cbranch_execnz .LBB6_397
	s_branch .LBB6_309
.LBB6_398:
	s_mov_b64 s[4:5], 0
	s_branch .LBB6_400
.LBB6_399:
	s_mov_b64 s[4:5], -1
.LBB6_400:
	s_and_b64 vcc, exec, s[4:5]
	s_cbranch_vccz .LBB6_427
; %bb.401:
	v_readfirstlane_b32 s4, v31
	v_cmp_eq_u32_e64 s[4:5], s4, v31
	s_waitcnt vmcnt(0)
	v_pk_mov_b32 v[8:9], 0, 0
	s_and_saveexec_b64 s[8:9], s[4:5]
	s_cbranch_execz .LBB6_407
; %bb.402:
	v_mov_b32_e32 v2, 0
	global_load_dwordx2 v[6:7], v2, s[6:7] offset:24 glc
	s_waitcnt vmcnt(0)
	buffer_invl2
	buffer_wbinvl1_vol
	global_load_dwordx2 v[4:5], v2, s[6:7] offset:40
	global_load_dwordx2 v[8:9], v2, s[6:7]
	s_waitcnt vmcnt(1)
	v_and_b32_e32 v3, v4, v6
	v_and_b32_e32 v4, v5, v7
	v_mul_lo_u32 v4, v4, 24
	v_mul_hi_u32 v5, v3, 24
	v_mul_lo_u32 v3, v3, 24
	v_add_u32_e32 v5, v5, v4
	s_waitcnt vmcnt(0)
	v_add_co_u32_e32 v4, vcc, v8, v3
	v_addc_co_u32_e32 v5, vcc, v9, v5, vcc
	global_load_dwordx2 v[4:5], v[4:5], off glc
	s_waitcnt vmcnt(0)
	global_atomic_cmpswap_x2 v[8:9], v2, v[4:7], s[6:7] offset:24 glc
	s_waitcnt vmcnt(0)
	buffer_invl2
	buffer_wbinvl1_vol
	v_cmp_ne_u64_e32 vcc, v[8:9], v[6:7]
	s_and_saveexec_b64 s[10:11], vcc
	s_cbranch_execz .LBB6_406
; %bb.403:
	s_mov_b64 s[12:13], 0
.LBB6_404:                              ; =>This Inner Loop Header: Depth=1
	s_sleep 1
	global_load_dwordx2 v[4:5], v2, s[6:7] offset:40
	global_load_dwordx2 v[10:11], v2, s[6:7]
	v_pk_mov_b32 v[6:7], v[8:9], v[8:9] op_sel:[0,1]
	s_waitcnt vmcnt(1)
	v_and_b32_e32 v4, v4, v6
	v_and_b32_e32 v3, v5, v7
	s_waitcnt vmcnt(0)
	v_mad_u64_u32 v[4:5], s[14:15], v4, 24, v[10:11]
	v_mov_b32_e32 v8, v5
	v_mad_u64_u32 v[8:9], s[14:15], v3, 24, v[8:9]
	v_mov_b32_e32 v5, v8
	global_load_dwordx2 v[4:5], v[4:5], off glc
	s_waitcnt vmcnt(0)
	global_atomic_cmpswap_x2 v[8:9], v2, v[4:7], s[6:7] offset:24 glc
	s_waitcnt vmcnt(0)
	buffer_invl2
	buffer_wbinvl1_vol
	v_cmp_eq_u64_e32 vcc, v[8:9], v[6:7]
	s_or_b64 s[12:13], vcc, s[12:13]
	s_andn2_b64 exec, exec, s[12:13]
	s_cbranch_execnz .LBB6_404
; %bb.405:
	s_or_b64 exec, exec, s[12:13]
.LBB6_406:
	s_or_b64 exec, exec, s[10:11]
.LBB6_407:
	s_or_b64 exec, exec, s[8:9]
	v_mov_b32_e32 v2, 0
	global_load_dwordx2 v[10:11], v2, s[6:7] offset:40
	global_load_dwordx4 v[4:7], v2, s[6:7]
	v_readfirstlane_b32 s8, v8
	v_readfirstlane_b32 s9, v9
	s_mov_b64 s[10:11], exec
	s_waitcnt vmcnt(1)
	v_readfirstlane_b32 s12, v10
	v_readfirstlane_b32 s13, v11
	s_and_b64 s[12:13], s[8:9], s[12:13]
	s_mul_i32 s14, s13, 24
	s_mul_hi_u32 s15, s12, 24
	s_mul_i32 s16, s12, 24
	s_add_i32 s14, s15, s14
	v_mov_b32_e32 v3, s14
	s_waitcnt vmcnt(0)
	v_add_co_u32_e32 v8, vcc, s16, v4
	v_addc_co_u32_e32 v9, vcc, v5, v3, vcc
	s_and_saveexec_b64 s[14:15], s[4:5]
	s_cbranch_execz .LBB6_409
; %bb.408:
	v_pk_mov_b32 v[10:11], s[10:11], s[10:11] op_sel:[0,1]
	v_mov_b32_e32 v12, 2
	v_mov_b32_e32 v13, 1
	global_store_dwordx4 v[8:9], v[10:13], off offset:8
.LBB6_409:
	s_or_b64 exec, exec, s[14:15]
	s_lshl_b64 s[10:11], s[12:13], 12
	v_mov_b32_e32 v3, s11
	v_add_co_u32_e32 v6, vcc, s10, v6
	v_addc_co_u32_e32 v7, vcc, v7, v3, vcc
	s_movk_i32 s10, 0xff1d
	s_mov_b32 s12, 0
	v_and_or_b32 v0, v0, s10, 34
	v_mov_b32_e32 v3, v2
	v_readfirstlane_b32 s10, v6
	v_readfirstlane_b32 s11, v7
	s_mov_b32 s13, s12
	s_mov_b32 s14, s12
	;; [unrolled: 1-line block ×3, first 2 shown]
	s_nop 1
	global_store_dwordx4 v30, v[0:3], s[10:11]
	s_nop 0
	v_pk_mov_b32 v[0:1], s[12:13], s[12:13] op_sel:[0,1]
	v_pk_mov_b32 v[2:3], s[14:15], s[14:15] op_sel:[0,1]
	global_store_dwordx4 v30, v[0:3], s[10:11] offset:16
	global_store_dwordx4 v30, v[0:3], s[10:11] offset:32
	;; [unrolled: 1-line block ×3, first 2 shown]
	s_and_saveexec_b64 s[10:11], s[4:5]
	s_cbranch_execz .LBB6_417
; %bb.410:
	v_mov_b32_e32 v6, 0
	global_load_dwordx2 v[12:13], v6, s[6:7] offset:32 glc
	global_load_dwordx2 v[0:1], v6, s[6:7] offset:40
	v_mov_b32_e32 v10, s8
	v_mov_b32_e32 v11, s9
	s_waitcnt vmcnt(0)
	v_readfirstlane_b32 s12, v0
	v_readfirstlane_b32 s13, v1
	s_and_b64 s[12:13], s[12:13], s[8:9]
	s_mul_i32 s13, s13, 24
	s_mul_hi_u32 s14, s12, 24
	s_mul_i32 s12, s12, 24
	s_add_i32 s13, s14, s13
	v_mov_b32_e32 v0, s13
	v_add_co_u32_e32 v4, vcc, s12, v4
	v_addc_co_u32_e32 v5, vcc, v5, v0, vcc
	global_store_dwordx2 v[4:5], v[12:13], off
	buffer_wbl2
	s_waitcnt vmcnt(0)
	global_atomic_cmpswap_x2 v[2:3], v6, v[10:13], s[6:7] offset:32 glc
	s_waitcnt vmcnt(0)
	v_cmp_ne_u64_e32 vcc, v[2:3], v[12:13]
	s_and_saveexec_b64 s[12:13], vcc
	s_cbranch_execz .LBB6_413
; %bb.411:
	s_mov_b64 s[14:15], 0
.LBB6_412:                              ; =>This Inner Loop Header: Depth=1
	s_sleep 1
	global_store_dwordx2 v[4:5], v[2:3], off
	v_mov_b32_e32 v0, s8
	v_mov_b32_e32 v1, s9
	buffer_wbl2
	s_waitcnt vmcnt(0)
	global_atomic_cmpswap_x2 v[0:1], v6, v[0:3], s[6:7] offset:32 glc
	s_waitcnt vmcnt(0)
	v_cmp_eq_u64_e32 vcc, v[0:1], v[2:3]
	s_or_b64 s[14:15], vcc, s[14:15]
	v_pk_mov_b32 v[2:3], v[0:1], v[0:1] op_sel:[0,1]
	s_andn2_b64 exec, exec, s[14:15]
	s_cbranch_execnz .LBB6_412
.LBB6_413:
	s_or_b64 exec, exec, s[12:13]
	v_mov_b32_e32 v3, 0
	global_load_dwordx2 v[0:1], v3, s[6:7] offset:16
	s_mov_b64 s[12:13], exec
	v_mbcnt_lo_u32_b32 v2, s12, 0
	v_mbcnt_hi_u32_b32 v2, s13, v2
	v_cmp_eq_u32_e32 vcc, 0, v2
	s_and_saveexec_b64 s[14:15], vcc
	s_cbranch_execz .LBB6_415
; %bb.414:
	s_bcnt1_i32_b64 s12, s[12:13]
	v_mov_b32_e32 v2, s12
	buffer_wbl2
	s_waitcnt vmcnt(0)
	global_atomic_add_x2 v[0:1], v[2:3], off offset:8
.LBB6_415:
	s_or_b64 exec, exec, s[14:15]
	s_waitcnt vmcnt(0)
	global_load_dwordx2 v[2:3], v[0:1], off offset:16
	s_waitcnt vmcnt(0)
	v_cmp_eq_u64_e32 vcc, 0, v[2:3]
	s_cbranch_vccnz .LBB6_417
; %bb.416:
	global_load_dword v0, v[0:1], off offset:24
	v_mov_b32_e32 v1, 0
	buffer_wbl2
	s_waitcnt vmcnt(0)
	global_store_dwordx2 v[2:3], v[0:1], off
	v_and_b32_e32 v0, 0xffffff, v0
	v_readfirstlane_b32 m0, v0
	s_sendmsg sendmsg(MSG_INTERRUPT)
.LBB6_417:
	s_or_b64 exec, exec, s[10:11]
	s_branch .LBB6_419
.LBB6_418:
	s_branch .LBB6_423
.LBB6_419:                              ; =>This Inner Loop Header: Depth=1
	v_mov_b32_e32 v0, 1
	s_and_saveexec_b64 s[10:11], s[4:5]
	s_cbranch_execz .LBB6_421
; %bb.420:                              ;   in Loop: Header=BB6_419 Depth=1
	global_load_dword v0, v[8:9], off offset:20 glc
	s_waitcnt vmcnt(0)
	buffer_invl2
	buffer_wbinvl1_vol
	v_and_b32_e32 v0, 1, v0
.LBB6_421:                              ;   in Loop: Header=BB6_419 Depth=1
	s_or_b64 exec, exec, s[10:11]
	v_readfirstlane_b32 s10, v0
	s_cmp_eq_u32 s10, 0
	s_cbranch_scc1 .LBB6_418
; %bb.422:                              ;   in Loop: Header=BB6_419 Depth=1
	s_sleep 1
	s_cbranch_execnz .LBB6_419
.LBB6_423:
	s_and_saveexec_b64 s[10:11], s[4:5]
	s_cbranch_execz .LBB6_426
; %bb.424:
	v_mov_b32_e32 v6, 0
	global_load_dwordx2 v[4:5], v6, s[6:7] offset:40
	global_load_dwordx2 v[8:9], v6, s[6:7] offset:24 glc
	global_load_dwordx2 v[10:11], v6, s[6:7]
	v_mov_b32_e32 v1, s9
	s_mov_b64 s[4:5], 0
	s_waitcnt vmcnt(2)
	v_add_co_u32_e32 v3, vcc, 1, v4
	v_addc_co_u32_e32 v7, vcc, 0, v5, vcc
	v_add_co_u32_e32 v0, vcc, s8, v3
	v_addc_co_u32_e32 v1, vcc, v7, v1, vcc
	v_cmp_eq_u64_e32 vcc, 0, v[0:1]
	v_cndmask_b32_e32 v1, v1, v7, vcc
	v_cndmask_b32_e32 v0, v0, v3, vcc
	v_and_b32_e32 v3, v1, v5
	v_and_b32_e32 v4, v0, v4
	v_mul_lo_u32 v3, v3, 24
	v_mul_hi_u32 v5, v4, 24
	v_mul_lo_u32 v4, v4, 24
	v_add_u32_e32 v3, v5, v3
	s_waitcnt vmcnt(0)
	v_add_co_u32_e32 v4, vcc, v10, v4
	v_addc_co_u32_e32 v5, vcc, v11, v3, vcc
	v_mov_b32_e32 v2, v8
	global_store_dwordx2 v[4:5], v[8:9], off
	v_mov_b32_e32 v3, v9
	buffer_wbl2
	s_waitcnt vmcnt(0)
	global_atomic_cmpswap_x2 v[2:3], v6, v[0:3], s[6:7] offset:24 glc
	s_waitcnt vmcnt(0)
	v_cmp_ne_u64_e32 vcc, v[2:3], v[8:9]
	s_and_b64 exec, exec, vcc
	s_cbranch_execz .LBB6_426
.LBB6_425:                              ; =>This Inner Loop Header: Depth=1
	s_sleep 1
	global_store_dwordx2 v[4:5], v[2:3], off
	buffer_wbl2
	s_waitcnt vmcnt(0)
	global_atomic_cmpswap_x2 v[8:9], v6, v[0:3], s[6:7] offset:24 glc
	s_waitcnt vmcnt(0)
	v_cmp_eq_u64_e32 vcc, v[8:9], v[2:3]
	s_or_b64 s[4:5], vcc, s[4:5]
	v_pk_mov_b32 v[2:3], v[8:9], v[8:9] op_sel:[0,1]
	s_andn2_b64 exec, exec, s[4:5]
	s_cbranch_execnz .LBB6_425
.LBB6_426:
	s_or_b64 exec, exec, s[10:11]
.LBB6_427:
	s_getpc_b64 s[4:5]
	s_add_u32 s4, s4, .str.29@rel32@lo+4
	s_addc_u32 s5, s5, .str.29@rel32@hi+12
	s_getpc_b64 s[6:7]
	s_add_u32 s6, s6, .str.19@rel32@lo+4
	s_addc_u32 s7, s7, .str.19@rel32@hi+12
	s_getpc_b64 s[10:11]
	s_add_u32 s10, s10, __PRETTY_FUNCTION__._ZN7VecsMemIjLi8192EE5fetchEi@rel32@lo+4
	s_addc_u32 s11, s11, __PRETTY_FUNCTION__._ZN7VecsMemIjLi8192EE5fetchEi@rel32@hi+12
	s_mov_b64 s[8:9], s[48:49]
	s_waitcnt vmcnt(0)
	v_mov_b32_e32 v0, s4
	v_mov_b32_e32 v1, s5
	;; [unrolled: 1-line block ×7, first 2 shown]
	s_getpc_b64 s[12:13]
	s_add_u32 s12, s12, __assert_fail@rel32@lo+4
	s_addc_u32 s13, s13, __assert_fail@rel32@hi+12
	s_swappc_b64 s[30:31], s[12:13]
	v_accvgpr_read_b32 v21, a1
	v_accvgpr_read_b32 v23, a3
	;; [unrolled: 1-line block ×3, first 2 shown]
	s_or_b64 s[4:5], s[38:39], exec
	v_accvgpr_read_b32 v20, a0
	v_accvgpr_read_b32 v22, a2
	;; [unrolled: 1-line block ×3, first 2 shown]
.LBB6_428:
	s_or_b64 exec, exec, s[60:61]
	s_andn2_b64 s[6:7], s[38:39], exec
	s_and_b64 s[4:5], s[4:5], exec
	s_or_b64 s[60:61], s[6:7], s[4:5]
	s_orn2_b64 s[6:7], s[58:59], exec
.LBB6_429:
	s_or_b64 exec, exec, s[44:45]
	s_mov_b64 s[4:5], 0
	s_and_saveexec_b64 s[44:45], s[6:7]
	s_cbranch_execz .LBB6_441
; %bb.430:
	s_mov_b32 s10, 0
	v_cmp_lt_i32_e32 vcc, 0, v44
	v_mov_b32_e32 v0, 0
	buffer_store_dword v57, off, s[0:3], s33 offset:188
	buffer_store_dword v56, off, s[0:3], s33 offset:184
	s_and_saveexec_b64 s[4:5], vcc
	s_cbranch_execz .LBB6_438
; %bb.431:
	s_mov_b64 s[6:7], 0
	v_mov_b32_e32 v0, 0
	v_pk_mov_b32 v[2:3], v[58:59], v[58:59] op_sel:[0,1]
	s_branch .LBB6_433
.LBB6_432:                              ;   in Loop: Header=BB6_433 Depth=1
	s_or_b64 exec, exec, s[8:9]
	flat_load_dword v44, v[24:25] offset:4
	s_add_i32 s10, s10, 1
	s_waitcnt vmcnt(0) lgkmcnt(0)
	v_cmp_ge_i32_e32 vcc, s10, v44
	s_or_b64 s[6:7], vcc, s[6:7]
	v_add_co_u32_e32 v2, vcc, 4, v2
	v_addc_co_u32_e32 v3, vcc, 0, v3, vcc
	s_andn2_b64 exec, exec, s[6:7]
	s_cbranch_execz .LBB6_437
.LBB6_433:                              ; =>This Inner Loop Header: Depth=1
	flat_load_dword v4, v[2:3]
	s_waitcnt vmcnt(0) lgkmcnt(0)
	v_cmp_gt_i32_e32 vcc, 0, v4
	s_and_saveexec_b64 s[8:9], vcc
	s_xor_b64 s[8:9], exec, s[8:9]
	s_cbranch_execz .LBB6_435
; %bb.434:                              ;   in Loop: Header=BB6_433 Depth=1
	v_and_b32_e32 v1, 0x7fffffff, v4
	flat_store_dword v[2:3], v1
                                        ; implicit-def: $vgpr4
.LBB6_435:                              ;   in Loop: Header=BB6_433 Depth=1
	s_andn2_saveexec_b64 s[8:9], s[8:9]
	s_cbranch_execz .LBB6_432
; %bb.436:                              ;   in Loop: Header=BB6_433 Depth=1
	v_ashrrev_i32_e32 v1, 31, v0
	v_add_u32_e32 v5, 1, v0
	v_lshlrev_b64 v[0:1], 2, v[0:1]
	v_add_co_u32_e32 v0, vcc, v56, v0
	v_addc_co_u32_e32 v1, vcc, v57, v1, vcc
	flat_store_dword v[0:1], v4
	v_mov_b32_e32 v0, v5
	s_branch .LBB6_432
.LBB6_437:
	s_or_b64 exec, exec, s[6:7]
	buffer_store_dword v0, off, s[0:3], s33 offset:180
.LBB6_438:
	s_or_b64 exec, exec, s[4:5]
	v_cmp_ne_u32_e32 vcc, v42, v0
	s_mov_b64 s[4:5], -1
	s_mov_b64 s[6:7], s[60:61]
	s_and_saveexec_b64 s[8:9], vcc
	s_xor_b64 s[58:59], exec, s[8:9]
	s_cbranch_execz .LBB6_440
; %bb.439:
	s_getpc_b64 s[4:5]
	s_add_u32 s4, s4, .str.40@rel32@lo+4
	s_addc_u32 s5, s5, .str.40@rel32@hi+12
	s_getpc_b64 s[6:7]
	s_add_u32 s6, s6, .str.31@rel32@lo+4
	s_addc_u32 s7, s7, .str.31@rel32@hi+12
	s_getpc_b64 s[10:11]
	s_add_u32 s10, s10, __PRETTY_FUNCTION__._ZN3sop17sopDivideInternalEPNS_3SopES1_S1_S1_P7VecsMemIjLi8192EE@rel32@lo+4
	s_addc_u32 s11, s11, __PRETTY_FUNCTION__._ZN3sop17sopDivideInternalEPNS_3SopES1_S1_S1_P7VecsMemIjLi8192EE@rel32@hi+12
	s_mov_b64 s[8:9], s[48:49]
	v_mov_b32_e32 v0, s4
	v_mov_b32_e32 v1, s5
	;; [unrolled: 1-line block ×7, first 2 shown]
	v_accvgpr_write_b32 a0, v22
	v_accvgpr_write_b32 a2, v24
	s_getpc_b64 s[12:13]
	s_add_u32 s12, s12, __assert_fail@rel32@lo+4
	s_addc_u32 s13, s13, __assert_fail@rel32@hi+12
	v_pk_mov_b32 v[54:55], v[20:21], v[20:21] op_sel:[0,1]
	v_accvgpr_write_b32 a1, v23
	v_accvgpr_write_b32 a3, v25
	s_swappc_b64 s[30:31], s[12:13]
	v_accvgpr_read_b32 v25, a3
	v_accvgpr_read_b32 v23, a1
	;; [unrolled: 1-line block ×4, first 2 shown]
	v_pk_mov_b32 v[20:21], v[54:55], v[54:55] op_sel:[0,1]
	s_or_b64 s[6:7], s[60:61], exec
	s_xor_b64 s[4:5], exec, -1
                                        ; implicit-def: $vgpr46
                                        ; implicit-def: $vgpr54_vgpr55
                                        ; implicit-def: $vgpr44
.LBB6_440:
	s_or_b64 exec, exec, s[58:59]
	s_andn2_b64 s[8:9], s[60:61], exec
	s_and_b64 s[6:7], s[6:7], exec
	s_or_b64 s[60:61], s[8:9], s[6:7]
	s_and_b64 s[4:5], s[4:5], exec
.LBB6_441:
	s_or_b64 exec, exec, s[44:45]
	s_andn2_b64 s[6:7], s[38:39], exec
	s_and_b64 s[8:9], s[60:61], exec
	s_or_b64 s[58:59], s[6:7], s[8:9]
	s_and_b64 s[44:45], s[4:5], exec
.LBB6_442:
	s_andn2_saveexec_b64 s[42:43], s[42:43]
	s_cbranch_execz .LBB6_444
; %bb.443:
	s_getpc_b64 s[4:5]
	s_add_u32 s4, s4, .str.39@rel32@lo+4
	s_addc_u32 s5, s5, .str.39@rel32@hi+12
	s_getpc_b64 s[6:7]
	s_add_u32 s6, s6, .str.31@rel32@lo+4
	s_addc_u32 s7, s7, .str.31@rel32@hi+12
	s_getpc_b64 s[10:11]
	s_add_u32 s10, s10, __PRETTY_FUNCTION__._ZN3sop17sopDivideInternalEPNS_3SopES1_S1_S1_P7VecsMemIjLi8192EE@rel32@lo+4
	s_addc_u32 s11, s11, __PRETTY_FUNCTION__._ZN3sop17sopDivideInternalEPNS_3SopES1_S1_S1_P7VecsMemIjLi8192EE@rel32@hi+12
	s_mov_b64 s[8:9], s[48:49]
	v_mov_b32_e32 v0, s4
	v_mov_b32_e32 v1, s5
	;; [unrolled: 1-line block ×7, first 2 shown]
	v_accvgpr_write_b32 a0, v22
	v_accvgpr_write_b32 a2, v24
	s_getpc_b64 s[12:13]
	s_add_u32 s12, s12, __assert_fail@rel32@lo+4
	s_addc_u32 s13, s13, __assert_fail@rel32@hi+12
	v_pk_mov_b32 v[54:55], v[20:21], v[20:21] op_sel:[0,1]
	v_accvgpr_write_b32 a1, v23
	v_accvgpr_write_b32 a3, v25
	s_swappc_b64 s[30:31], s[12:13]
	v_accvgpr_read_b32 v25, a3
	v_accvgpr_read_b32 v23, a1
	;; [unrolled: 1-line block ×4, first 2 shown]
	v_pk_mov_b32 v[20:21], v[54:55], v[54:55] op_sel:[0,1]
	s_or_b64 s[58:59], s[58:59], exec
                                        ; implicit-def: $vgpr46
                                        ; implicit-def: $vgpr54_vgpr55
                                        ; implicit-def: $vgpr44
.LBB6_444:
	s_or_b64 exec, exec, s[42:43]
	s_andn2_b64 s[4:5], s[38:39], exec
	s_and_b64 s[6:7], s[58:59], exec
	s_or_b64 s[38:39], s[4:5], s[6:7]
	s_and_b64 s[4:5], s[44:45], exec
.LBB6_445:
	s_or_b64 exec, exec, s[40:41]
	s_andn2_b64 s[6:7], s[28:29], exec
	s_and_b64 s[8:9], s[38:39], exec
	s_or_b64 s[58:59], s[6:7], s[8:9]
	s_and_b64 s[4:5], s[4:5], exec
                                        ; implicit-def: $vgpr42_vgpr43
	s_or_saveexec_b64 s[6:7], s[26:27]
	s_mov_b64 s[60:61], 0
	s_xor_b64 exec, exec, s[6:7]
	s_cbranch_execnz .LBB6_192
.LBB6_446:
	s_or_b64 exec, exec, s[6:7]
                                        ; implicit-def: $vgpr40
	s_and_saveexec_b64 s[62:63], s[4:5]
	s_cbranch_execz .LBB6_1692
.LBB6_447:
	s_waitcnt vmcnt(0)
	v_cmp_gt_i32_e32 vcc, 1, v46
	s_mov_b64 s[64:65], s[58:59]
	s_and_saveexec_b64 s[4:5], vcc
	s_xor_b64 s[26:27], exec, s[4:5]
	s_cbranch_execz .LBB6_449
; %bb.448:
	s_getpc_b64 s[4:5]
	s_add_u32 s4, s4, .str.34@rel32@lo+4
	s_addc_u32 s5, s5, .str.34@rel32@hi+12
	s_getpc_b64 s[6:7]
	s_add_u32 s6, s6, .str.31@rel32@lo+4
	s_addc_u32 s7, s7, .str.31@rel32@hi+12
	s_getpc_b64 s[10:11]
	s_add_u32 s10, s10, __PRETTY_FUNCTION__._ZN3sop12sopFactorRecEPNS_3SopEiP7VecsMemIjLi8192EEPN8subgUtil4SubgILi256EEE@rel32@lo+4
	s_addc_u32 s11, s11, __PRETTY_FUNCTION__._ZN3sop12sopFactorRecEPNS_3SopEiP7VecsMemIjLi8192EEPN8subgUtil4SubgILi256EEE@rel32@hi+12
	s_mov_b64 s[8:9], s[48:49]
	v_mov_b32_e32 v0, s4
	v_mov_b32_e32 v1, s5
	s_waitcnt lgkmcnt(0)
	v_mov_b32_e32 v2, s6
	v_mov_b32_e32 v3, s7
	;; [unrolled: 1-line block ×5, first 2 shown]
	s_getpc_b64 s[12:13]
	s_add_u32 s12, s12, __assert_fail@rel32@lo+4
	s_addc_u32 s13, s13, __assert_fail@rel32@hi+12
	s_swappc_b64 s[30:31], s[12:13]
	s_or_b64 s[64:65], s[58:59], exec
                                        ; implicit-def: $vgpr46
                                        ; implicit-def: $vgpr54_vgpr55
                                        ; implicit-def: $vgpr44
                                        ; implicit-def: $vgpr58_vgpr59
                                        ; implicit-def: $vgpr22_vgpr23
                                        ; implicit-def: $vgpr20_vgpr21
                                        ; implicit-def: $vgpr41
                                        ; implicit-def: $vgpr24_vgpr25
.LBB6_449:
	s_or_saveexec_b64 s[88:89], s[26:27]
                                        ; implicit-def: $vgpr40
	s_xor_b64 exec, exec, s[88:89]
	s_cbranch_execz .LBB6_1691
; %bb.450:
	v_add_co_u32_e32 v45, vcc, 4, v22
	v_addc_co_u32_e32 v56, vcc, 0, v23, vcc
	v_cmp_ne_u32_e32 vcc, 1, v46
	s_mov_b64 s[38:39], 0
	s_mov_b64 s[10:11], 0
	;; [unrolled: 1-line block ×3, first 2 shown]
                                        ; implicit-def: $vgpr40
	s_and_saveexec_b64 s[4:5], vcc
	s_xor_b64 s[40:41], exec, s[4:5]
                                        ; implicit-def: $vgpr62 : SGPR spill to VGPR lane
	s_cbranch_execz .LBB6_799
; %bb.451:
	v_and_b32_e32 v3, 0x7ffffffe, v46
	s_mov_b64 s[4:5], 0
	s_waitcnt lgkmcnt(0)
	v_mov_b32_e32 v2, -1
	v_mov_b32_e32 v4, v3
	v_pk_mov_b32 v[0:1], v[54:55], v[54:55] op_sel:[0,1]
	v_mov_b32_e32 v5, -1
.LBB6_452:                              ; =>This Inner Loop Header: Depth=1
	flat_load_dwordx2 v[6:7], v[0:1]
	v_add_co_u32_e32 v0, vcc, 8, v0
	v_addc_co_u32_e32 v1, vcc, 0, v1, vcc
	v_add_u32_e32 v4, -2, v4
	v_cmp_eq_u32_e32 vcc, 0, v4
	s_or_b64 s[4:5], vcc, s[4:5]
	s_waitcnt vmcnt(0) lgkmcnt(0)
	v_and_b32_e32 v5, v7, v5
	v_and_b32_e32 v2, v6, v2
	s_andn2_b64 exec, exec, s[4:5]
	s_cbranch_execnz .LBB6_452
; %bb.453:
	s_or_b64 exec, exec, s[4:5]
	v_and_b32_e32 v2, v2, v5
	v_cmp_ne_u32_e32 vcc, v46, v3
	s_and_saveexec_b64 s[4:5], vcc
	s_cbranch_execz .LBB6_457
; %bb.454:
	v_bfe_u32 v0, v46, 1, 30
	v_mov_b32_e32 v1, 0
	v_lshlrev_b64 v[0:1], 3, v[0:1]
	v_add_co_u32_e32 v0, vcc, v54, v0
	v_sub_u32_e32 v3, v46, v3
	v_addc_co_u32_e32 v1, vcc, v55, v1, vcc
	s_mov_b64 s[6:7], 0
.LBB6_455:                              ; =>This Inner Loop Header: Depth=1
	flat_load_dword v4, v[0:1]
	v_add_co_u32_e32 v0, vcc, 4, v0
	v_add_u32_e32 v3, -1, v3
	v_addc_co_u32_e32 v1, vcc, 0, v1, vcc
	v_cmp_eq_u32_e32 vcc, 0, v3
	s_or_b64 s[6:7], vcc, s[6:7]
	s_waitcnt vmcnt(0) lgkmcnt(0)
	v_and_b32_e32 v2, v4, v2
	s_andn2_b64 exec, exec, s[6:7]
	s_cbranch_execnz .LBB6_455
; %bb.456:
	s_or_b64 exec, exec, s[6:7]
.LBB6_457:
	s_or_b64 exec, exec, s[4:5]
	v_cmp_ne_u32_e32 vcc, 0, v2
	s_and_saveexec_b64 s[4:5], vcc
	s_cbranch_execz .LBB6_464
; %bb.458:
	v_max_i32_e32 v4, 1, v46
	v_not_b32_e32 v0, v2
	v_and_b32_e32 v5, 0x7ffffffe, v4
	v_mov_b32_e32 v1, v0
	s_mov_b64 s[6:7], 0
	v_mov_b32_e32 v6, v5
	v_pk_mov_b32 v[2:3], v[54:55], v[54:55] op_sel:[0,1]
.LBB6_459:                              ; =>This Inner Loop Header: Depth=1
	flat_load_dwordx2 v[8:9], v[2:3]
	v_add_u32_e32 v6, -2, v6
	v_cmp_eq_u32_e32 vcc, 0, v6
	s_or_b64 s[6:7], vcc, s[6:7]
	s_waitcnt vmcnt(0) lgkmcnt(0)
	v_and_b32_e32 v9, v9, v1
	v_and_b32_e32 v8, v8, v0
	flat_store_dwordx2 v[2:3], v[8:9]
	v_add_co_u32_e32 v2, vcc, 8, v2
	v_addc_co_u32_e32 v3, vcc, 0, v3, vcc
	s_andn2_b64 exec, exec, s[6:7]
	s_cbranch_execnz .LBB6_459
; %bb.460:
	s_or_b64 exec, exec, s[6:7]
	v_cmp_ne_u32_e32 vcc, v4, v5
	s_and_saveexec_b64 s[6:7], vcc
	s_cbranch_execz .LBB6_463
; %bb.461:
	v_lshrrev_b32_e32 v2, 1, v4
	v_mov_b32_e32 v3, 0
	v_lshlrev_b64 v[2:3], 3, v[2:3]
	v_add_co_u32_e32 v2, vcc, v54, v2
	v_sub_u32_e32 v1, v46, v5
	v_addc_co_u32_e32 v3, vcc, v55, v3, vcc
	s_mov_b64 s[8:9], 0
.LBB6_462:                              ; =>This Inner Loop Header: Depth=1
	flat_load_dword v4, v[2:3]
	v_add_u32_e32 v1, -1, v1
	v_cmp_eq_u32_e32 vcc, 0, v1
	s_or_b64 s[8:9], vcc, s[8:9]
	s_waitcnt vmcnt(0) lgkmcnt(0)
	v_and_b32_e32 v4, v4, v0
	flat_store_dword v[2:3], v4
	v_add_co_u32_e32 v2, vcc, 4, v2
	v_addc_co_u32_e32 v3, vcc, 0, v3, vcc
	s_andn2_b64 exec, exec, s[8:9]
	s_cbranch_execnz .LBB6_462
.LBB6_463:
	s_or_b64 exec, exec, s[6:7]
	flat_load_dword v44, v[24:25] offset:4
.LBB6_464:
	s_or_b64 exec, exec, s[4:5]
	s_waitcnt vmcnt(0) lgkmcnt(0)
	v_cmp_ge_i32_e32 vcc, v44, v46
	s_mov_b64 s[26:27], 0
	s_mov_b64 s[44:45], s[64:65]
                                        ; implicit-def: $vgpr40
	s_and_saveexec_b64 s[4:5], vcc
	s_xor_b64 s[42:43], exec, s[4:5]
	s_cbranch_execz .LBB6_796
; %bb.465:
	buffer_load_dword v42, off, s[0:3], s33 offset:164
	v_mov_b32_e32 v2, 0
	v_sub_u32_e32 v3, 0, v44
	buffer_store_dword v2, off, s[0:3], s33 offset:148
	v_max_i32_e32 v2, v44, v3
	s_mov_b64 s[4:5], -1
	v_pk_mov_b32 v[54:55], 0, 0
	s_mov_b64 s[26:27], s[64:65]
	s_waitcnt vmcnt(1)
	v_sub_u32_e32 v0, 0, v42
	v_max_i32_e32 v0, v42, v0
	v_cvt_f32_u32_e32 v1, v0
	v_sub_u32_e32 v4, 0, v0
	v_xor_b32_e32 v3, v44, v42
	v_ashrrev_i32_e32 v3, 31, v3
	v_rcp_iflag_f32_e32 v1, v1
	v_mul_f32_e32 v1, 0x4f7ffffe, v1
	v_cvt_u32_f32_e32 v1, v1
	v_mul_lo_u32 v4, v4, v1
	v_mul_hi_u32 v4, v1, v4
	v_add_u32_e32 v1, v1, v4
	v_mul_hi_u32 v1, v2, v1
	v_mul_lo_u32 v4, v1, v0
	v_sub_u32_e32 v2, v2, v4
	v_add_u32_e32 v5, 1, v1
	v_cmp_ge_u32_e32 vcc, v2, v0
	v_sub_u32_e32 v4, v2, v0
	v_cndmask_b32_e32 v1, v1, v5, vcc
	v_cndmask_b32_e32 v2, v2, v4, vcc
	v_add_u32_e32 v4, 1, v1
	v_cmp_ge_u32_e32 vcc, v2, v0
	v_cndmask_b32_e32 v0, v1, v4, vcc
	v_xor_b32_e32 v0, v0, v3
	v_sub_u32_e32 v0, v0, v3
	v_cmp_lt_i32_e32 vcc, 0, v0
	s_and_saveexec_b64 s[44:45], vcc
	s_cbranch_execz .LBB6_616
; %bb.466:
	flat_load_dword v1, v[22:23]
	s_movk_i32 s4, 0x2001
	s_mov_b64 s[68:69], 0
	v_pk_mov_b32 v[54:55], 0, 0
	s_waitcnt vmcnt(0) lgkmcnt(0)
	v_add_u32_e32 v2, v1, v0
	v_cmp_gt_i32_e32 vcc, s4, v2
	s_and_saveexec_b64 s[4:5], vcc
	s_xor_b64 s[4:5], exec, s[4:5]
	s_cbranch_execz .LBB6_468
; %bb.467:
	v_ashrrev_i32_e32 v3, 31, v2
	flat_store_dword v[22:23], v2
	v_lshlrev_b64 v[2:3], 2, v[2:3]
	v_add_co_u32_e32 v2, vcc, v22, v2
	v_mov_b32_e32 v1, 0
	v_addc_co_u32_e32 v3, vcc, v23, v3, vcc
	v_lshlrev_b64 v[0:1], 2, v[0:1]
	v_sub_co_u32_e32 v0, vcc, v2, v0
	v_subb_co_u32_e32 v1, vcc, v3, v1, vcc
	v_add_co_u32_e32 v54, vcc, 4, v0
	s_mov_b64 s[68:69], exec
	v_addc_co_u32_e32 v55, vcc, 0, v1, vcc
.LBB6_468:
	s_or_saveexec_b64 s[26:27], s[4:5]
	s_mov_b64 s[4:5], s[64:65]
	s_xor_b64 exec, exec, s[26:27]
	s_cbranch_execz .LBB6_615
; %bb.469:
	s_load_dwordx2 s[6:7], s[48:49], 0x50
	v_mbcnt_lo_u32_b32 v0, -1, 0
	v_mbcnt_hi_u32_b32 v31, -1, v0
	v_accvgpr_write_b32 a4, v24
	v_accvgpr_write_b32 a2, v22
	;; [unrolled: 1-line block ×3, first 2 shown]
	v_readfirstlane_b32 s4, v31
	v_accvgpr_write_b32 a5, v25
	v_accvgpr_write_b32 a3, v23
	;; [unrolled: 1-line block ×3, first 2 shown]
	v_cmp_eq_u32_e64 s[4:5], s4, v31
	v_pk_mov_b32 v[6:7], 0, 0
	s_and_saveexec_b64 s[8:9], s[4:5]
	s_cbranch_execz .LBB6_475
; %bb.470:
	v_mov_b32_e32 v0, 0
	s_waitcnt lgkmcnt(0)
	global_load_dwordx2 v[4:5], v0, s[6:7] offset:24 glc
	s_waitcnt vmcnt(0)
	buffer_invl2
	buffer_wbinvl1_vol
	global_load_dwordx2 v[2:3], v0, s[6:7] offset:40
	global_load_dwordx2 v[6:7], v0, s[6:7]
	s_waitcnt vmcnt(1)
	v_and_b32_e32 v1, v2, v4
	v_and_b32_e32 v2, v3, v5
	v_mul_lo_u32 v2, v2, 24
	v_mul_hi_u32 v3, v1, 24
	v_mul_lo_u32 v1, v1, 24
	v_add_u32_e32 v3, v3, v2
	s_waitcnt vmcnt(0)
	v_add_co_u32_e32 v2, vcc, v6, v1
	v_addc_co_u32_e32 v3, vcc, v7, v3, vcc
	global_load_dwordx2 v[2:3], v[2:3], off glc
	s_waitcnt vmcnt(0)
	global_atomic_cmpswap_x2 v[6:7], v0, v[2:5], s[6:7] offset:24 glc
	s_waitcnt vmcnt(0)
	buffer_invl2
	buffer_wbinvl1_vol
	v_cmp_ne_u64_e32 vcc, v[6:7], v[4:5]
	s_and_saveexec_b64 s[10:11], vcc
	s_cbranch_execz .LBB6_474
; %bb.471:
	s_mov_b64 s[12:13], 0
.LBB6_472:                              ; =>This Inner Loop Header: Depth=1
	s_sleep 1
	global_load_dwordx2 v[2:3], v0, s[6:7] offset:40
	global_load_dwordx2 v[8:9], v0, s[6:7]
	v_pk_mov_b32 v[4:5], v[6:7], v[6:7] op_sel:[0,1]
	s_waitcnt vmcnt(1)
	v_and_b32_e32 v2, v2, v4
	v_and_b32_e32 v1, v3, v5
	s_waitcnt vmcnt(0)
	v_mad_u64_u32 v[2:3], s[14:15], v2, 24, v[8:9]
	v_mov_b32_e32 v6, v3
	v_mad_u64_u32 v[6:7], s[14:15], v1, 24, v[6:7]
	v_mov_b32_e32 v3, v6
	global_load_dwordx2 v[2:3], v[2:3], off glc
	s_waitcnt vmcnt(0)
	global_atomic_cmpswap_x2 v[6:7], v0, v[2:5], s[6:7] offset:24 glc
	s_waitcnt vmcnt(0)
	buffer_invl2
	buffer_wbinvl1_vol
	v_cmp_eq_u64_e32 vcc, v[6:7], v[4:5]
	s_or_b64 s[12:13], vcc, s[12:13]
	s_andn2_b64 exec, exec, s[12:13]
	s_cbranch_execnz .LBB6_472
; %bb.473:
	s_or_b64 exec, exec, s[12:13]
.LBB6_474:
	s_or_b64 exec, exec, s[10:11]
.LBB6_475:
	s_or_b64 exec, exec, s[8:9]
	v_mov_b32_e32 v5, 0
	s_waitcnt lgkmcnt(0)
	global_load_dwordx2 v[8:9], v5, s[6:7] offset:40
	global_load_dwordx4 v[0:3], v5, s[6:7]
	v_readfirstlane_b32 s8, v6
	v_readfirstlane_b32 s9, v7
	s_mov_b64 s[10:11], exec
	s_waitcnt vmcnt(0)
	v_readfirstlane_b32 s12, v8
	v_readfirstlane_b32 s13, v9
	s_and_b64 s[12:13], s[8:9], s[12:13]
	s_mul_i32 s14, s13, 24
	s_mul_hi_u32 s15, s12, 24
	s_mul_i32 s16, s12, 24
	s_add_i32 s14, s15, s14
	v_mov_b32_e32 v4, s14
	v_add_co_u32_e32 v8, vcc, s16, v0
	v_addc_co_u32_e32 v9, vcc, v1, v4, vcc
	s_and_saveexec_b64 s[14:15], s[4:5]
	s_cbranch_execz .LBB6_477
; %bb.476:
	v_pk_mov_b32 v[10:11], s[10:11], s[10:11] op_sel:[0,1]
	v_mov_b32_e32 v12, 2
	v_mov_b32_e32 v13, 1
	global_store_dwordx4 v[8:9], v[10:13], off offset:8
.LBB6_477:
	s_or_b64 exec, exec, s[14:15]
	s_lshl_b64 s[10:11], s[12:13], 12
	v_mov_b32_e32 v4, s11
	v_add_co_u32_e32 v2, vcc, s10, v2
	v_addc_co_u32_e32 v3, vcc, v3, v4, vcc
	s_mov_b32 s12, 0
	v_lshlrev_b32_e32 v30, 6, v31
	v_add_co_u32_e32 v10, vcc, v2, v30
	v_mov_b32_e32 v4, 33
	v_mov_b32_e32 v6, v5
	;; [unrolled: 1-line block ×3, first 2 shown]
	v_readfirstlane_b32 s10, v2
	v_readfirstlane_b32 s11, v3
	s_mov_b32 s13, s12
	v_addc_co_u32_e32 v11, vcc, 0, v3, vcc
	s_mov_b32 s14, s12
	s_mov_b32 s15, s12
	s_nop 0
	global_store_dwordx4 v30, v[4:7], s[10:11]
	v_pk_mov_b32 v[2:3], s[12:13], s[12:13] op_sel:[0,1]
	v_pk_mov_b32 v[4:5], s[14:15], s[14:15] op_sel:[0,1]
	global_store_dwordx4 v30, v[2:5], s[10:11] offset:16
	global_store_dwordx4 v30, v[2:5], s[10:11] offset:32
	;; [unrolled: 1-line block ×3, first 2 shown]
	s_and_saveexec_b64 s[10:11], s[4:5]
	s_cbranch_execz .LBB6_485
; %bb.478:
	v_mov_b32_e32 v6, 0
	global_load_dwordx2 v[14:15], v6, s[6:7] offset:32 glc
	global_load_dwordx2 v[2:3], v6, s[6:7] offset:40
	v_mov_b32_e32 v12, s8
	v_mov_b32_e32 v13, s9
	s_waitcnt vmcnt(0)
	v_and_b32_e32 v2, s8, v2
	v_and_b32_e32 v3, s9, v3
	v_mul_lo_u32 v3, v3, 24
	v_mul_hi_u32 v4, v2, 24
	v_mul_lo_u32 v2, v2, 24
	v_add_u32_e32 v3, v4, v3
	v_add_co_u32_e32 v4, vcc, v0, v2
	v_addc_co_u32_e32 v5, vcc, v1, v3, vcc
	global_store_dwordx2 v[4:5], v[14:15], off
	buffer_wbl2
	s_waitcnt vmcnt(0)
	global_atomic_cmpswap_x2 v[2:3], v6, v[12:15], s[6:7] offset:32 glc
	s_waitcnt vmcnt(0)
	v_cmp_ne_u64_e32 vcc, v[2:3], v[14:15]
	s_and_saveexec_b64 s[12:13], vcc
	s_cbranch_execz .LBB6_481
; %bb.479:
	s_mov_b64 s[14:15], 0
.LBB6_480:                              ; =>This Inner Loop Header: Depth=1
	s_sleep 1
	global_store_dwordx2 v[4:5], v[2:3], off
	v_mov_b32_e32 v0, s8
	v_mov_b32_e32 v1, s9
	buffer_wbl2
	s_waitcnt vmcnt(0)
	global_atomic_cmpswap_x2 v[0:1], v6, v[0:3], s[6:7] offset:32 glc
	s_waitcnt vmcnt(0)
	v_cmp_eq_u64_e32 vcc, v[0:1], v[2:3]
	s_or_b64 s[14:15], vcc, s[14:15]
	v_pk_mov_b32 v[2:3], v[0:1], v[0:1] op_sel:[0,1]
	s_andn2_b64 exec, exec, s[14:15]
	s_cbranch_execnz .LBB6_480
.LBB6_481:
	s_or_b64 exec, exec, s[12:13]
	v_mov_b32_e32 v3, 0
	global_load_dwordx2 v[0:1], v3, s[6:7] offset:16
	s_mov_b64 s[12:13], exec
	v_mbcnt_lo_u32_b32 v2, s12, 0
	v_mbcnt_hi_u32_b32 v2, s13, v2
	v_cmp_eq_u32_e32 vcc, 0, v2
	s_and_saveexec_b64 s[14:15], vcc
	s_cbranch_execz .LBB6_483
; %bb.482:
	s_bcnt1_i32_b64 s12, s[12:13]
	v_mov_b32_e32 v2, s12
	buffer_wbl2
	s_waitcnt vmcnt(0)
	global_atomic_add_x2 v[0:1], v[2:3], off offset:8
.LBB6_483:
	s_or_b64 exec, exec, s[14:15]
	s_waitcnt vmcnt(0)
	global_load_dwordx2 v[2:3], v[0:1], off offset:16
	s_waitcnt vmcnt(0)
	v_cmp_eq_u64_e32 vcc, 0, v[2:3]
	s_cbranch_vccnz .LBB6_485
; %bb.484:
	global_load_dword v0, v[0:1], off offset:24
	v_mov_b32_e32 v1, 0
	buffer_wbl2
	s_waitcnt vmcnt(0)
	global_store_dwordx2 v[2:3], v[0:1], off
	v_and_b32_e32 v0, 0xffffff, v0
	v_readfirstlane_b32 m0, v0
	s_sendmsg sendmsg(MSG_INTERRUPT)
.LBB6_485:
	s_or_b64 exec, exec, s[10:11]
	s_branch .LBB6_487
.LBB6_486:
	s_branch .LBB6_491
.LBB6_487:                              ; =>This Inner Loop Header: Depth=1
	v_mov_b32_e32 v0, 1
	s_and_saveexec_b64 s[10:11], s[4:5]
	s_cbranch_execz .LBB6_489
; %bb.488:                              ;   in Loop: Header=BB6_487 Depth=1
	global_load_dword v0, v[8:9], off offset:20 glc
	s_waitcnt vmcnt(0)
	buffer_invl2
	buffer_wbinvl1_vol
	v_and_b32_e32 v0, 1, v0
.LBB6_489:                              ;   in Loop: Header=BB6_487 Depth=1
	s_or_b64 exec, exec, s[10:11]
	v_readfirstlane_b32 s10, v0
	s_cmp_eq_u32 s10, 0
	s_cbranch_scc1 .LBB6_486
; %bb.490:                              ;   in Loop: Header=BB6_487 Depth=1
	s_sleep 1
	s_cbranch_execnz .LBB6_487
.LBB6_491:
	global_load_dwordx2 v[0:1], v[10:11], off
	s_and_saveexec_b64 s[10:11], s[4:5]
	s_cbranch_execz .LBB6_494
; %bb.492:
	v_mov_b32_e32 v8, 0
	global_load_dwordx2 v[6:7], v8, s[6:7] offset:40
	global_load_dwordx2 v[10:11], v8, s[6:7] offset:24 glc
	global_load_dwordx2 v[12:13], v8, s[6:7]
	v_mov_b32_e32 v3, s9
	s_mov_b64 s[4:5], 0
	s_waitcnt vmcnt(2)
	v_add_co_u32_e32 v5, vcc, 1, v6
	v_addc_co_u32_e32 v9, vcc, 0, v7, vcc
	v_add_co_u32_e32 v2, vcc, s8, v5
	v_addc_co_u32_e32 v3, vcc, v9, v3, vcc
	v_cmp_eq_u64_e32 vcc, 0, v[2:3]
	v_cndmask_b32_e32 v3, v3, v9, vcc
	v_cndmask_b32_e32 v2, v2, v5, vcc
	v_and_b32_e32 v5, v3, v7
	v_and_b32_e32 v6, v2, v6
	v_mul_lo_u32 v5, v5, 24
	v_mul_hi_u32 v7, v6, 24
	v_mul_lo_u32 v6, v6, 24
	v_add_u32_e32 v5, v7, v5
	s_waitcnt vmcnt(0)
	v_add_co_u32_e32 v6, vcc, v12, v6
	v_addc_co_u32_e32 v7, vcc, v13, v5, vcc
	v_mov_b32_e32 v4, v10
	global_store_dwordx2 v[6:7], v[10:11], off
	v_mov_b32_e32 v5, v11
	buffer_wbl2
	s_waitcnt vmcnt(0)
	global_atomic_cmpswap_x2 v[4:5], v8, v[2:5], s[6:7] offset:24 glc
	s_waitcnt vmcnt(0)
	v_cmp_ne_u64_e32 vcc, v[4:5], v[10:11]
	s_and_b64 exec, exec, vcc
	s_cbranch_execz .LBB6_494
.LBB6_493:                              ; =>This Inner Loop Header: Depth=1
	s_sleep 1
	global_store_dwordx2 v[6:7], v[4:5], off
	buffer_wbl2
	s_waitcnt vmcnt(0)
	global_atomic_cmpswap_x2 v[10:11], v8, v[2:5], s[6:7] offset:24 glc
	s_waitcnt vmcnt(0)
	v_cmp_eq_u64_e32 vcc, v[10:11], v[4:5]
	s_or_b64 s[4:5], vcc, s[4:5]
	v_pk_mov_b32 v[4:5], v[10:11], v[10:11] op_sel:[0,1]
	s_andn2_b64 exec, exec, s[4:5]
	s_cbranch_execnz .LBB6_493
.LBB6_494:
	s_or_b64 exec, exec, s[10:11]
	s_getpc_b64 s[8:9]
	s_add_u32 s8, s8, .str.28@rel32@lo+4
	s_addc_u32 s9, s9, .str.28@rel32@hi+12
	s_cmp_lg_u64 s[8:9], 0
	s_cbranch_scc0 .LBB6_586
; %bb.495:
	s_waitcnt vmcnt(0)
	v_and_b32_e32 v6, -3, v0
	v_mov_b32_e32 v7, v1
	s_mov_b64 s[10:11], 35
	v_mov_b32_e32 v27, 0
	v_mov_b32_e32 v4, 2
	;; [unrolled: 1-line block ×3, first 2 shown]
	s_branch .LBB6_497
.LBB6_496:                              ;   in Loop: Header=BB6_497 Depth=1
	s_or_b64 exec, exec, s[16:17]
	s_sub_u32 s10, s10, s12
	s_subb_u32 s11, s11, s13
	s_add_u32 s8, s8, s12
	s_addc_u32 s9, s9, s13
	s_cmp_lg_u64 s[10:11], 0
	s_cbranch_scc0 .LBB6_585
.LBB6_497:                              ; =>This Loop Header: Depth=1
                                        ;     Child Loop BB6_500 Depth 2
                                        ;     Child Loop BB6_508 Depth 2
                                        ;     Child Loop BB6_517 Depth 2
                                        ;     Child Loop BB6_526 Depth 2
                                        ;     Child Loop BB6_535 Depth 2
                                        ;     Child Loop BB6_544 Depth 2
                                        ;     Child Loop BB6_553 Depth 2
                                        ;     Child Loop BB6_562 Depth 2
                                        ;     Child Loop BB6_570 Depth 2
                                        ;     Child Loop BB6_577 Depth 2
                                        ;     Child Loop BB6_584 Depth 2
	v_cmp_lt_u64_e64 s[4:5], s[10:11], 56
	s_and_b64 s[4:5], s[4:5], exec
	v_cmp_gt_u64_e64 s[4:5], s[10:11], 7
	s_cselect_b32 s13, s11, 0
	s_cselect_b32 s12, s10, 56
	s_and_b64 vcc, exec, s[4:5]
	s_cbranch_vccnz .LBB6_502
; %bb.498:                              ;   in Loop: Header=BB6_497 Depth=1
	s_mov_b64 s[4:5], 0
	s_cmp_eq_u64 s[10:11], 0
	s_waitcnt vmcnt(0)
	v_pk_mov_b32 v[8:9], 0, 0
	s_cbranch_scc1 .LBB6_501
; %bb.499:                              ;   in Loop: Header=BB6_497 Depth=1
	s_lshl_b64 s[14:15], s[12:13], 3
	s_mov_b64 s[16:17], 0
	v_pk_mov_b32 v[8:9], 0, 0
	s_mov_b64 s[18:19], s[8:9]
.LBB6_500:                              ;   Parent Loop BB6_497 Depth=1
                                        ; =>  This Inner Loop Header: Depth=2
	global_load_ubyte v2, v27, s[18:19]
	s_waitcnt vmcnt(0)
	v_and_b32_e32 v26, 0xffff, v2
	v_lshlrev_b64 v[2:3], s16, v[26:27]
	s_add_u32 s16, s16, 8
	s_addc_u32 s17, s17, 0
	s_add_u32 s18, s18, 1
	s_addc_u32 s19, s19, 0
	v_or_b32_e32 v8, v2, v8
	s_cmp_lg_u32 s14, s16
	v_or_b32_e32 v9, v3, v9
	s_cbranch_scc1 .LBB6_500
.LBB6_501:                              ;   in Loop: Header=BB6_497 Depth=1
	s_mov_b32 s18, 0
	s_branch .LBB6_503
.LBB6_502:                              ;   in Loop: Header=BB6_497 Depth=1
	s_mov_b64 s[4:5], -1
                                        ; implicit-def: $sgpr18
.LBB6_503:                              ;   in Loop: Header=BB6_497 Depth=1
	s_andn2_b64 vcc, exec, s[4:5]
	s_mov_b64 s[4:5], s[8:9]
	s_cbranch_vccnz .LBB6_505
; %bb.504:                              ;   in Loop: Header=BB6_497 Depth=1
	global_load_dwordx2 v[8:9], v27, s[8:9]
	s_add_i32 s18, s12, -8
	s_add_u32 s4, s8, 8
	s_addc_u32 s5, s9, 0
.LBB6_505:                              ;   in Loop: Header=BB6_497 Depth=1
	s_cmp_gt_u32 s18, 7
	s_cbranch_scc1 .LBB6_509
; %bb.506:                              ;   in Loop: Header=BB6_497 Depth=1
	s_cmp_eq_u32 s18, 0
	s_cbranch_scc1 .LBB6_510
; %bb.507:                              ;   in Loop: Header=BB6_497 Depth=1
	s_mov_b64 s[14:15], 0
	v_pk_mov_b32 v[10:11], 0, 0
	s_mov_b64 s[16:17], 0
.LBB6_508:                              ;   Parent Loop BB6_497 Depth=1
                                        ; =>  This Inner Loop Header: Depth=2
	s_add_u32 s20, s4, s16
	s_addc_u32 s21, s5, s17
	global_load_ubyte v2, v27, s[20:21]
	s_add_u32 s16, s16, 1
	s_addc_u32 s17, s17, 0
	s_waitcnt vmcnt(0)
	v_and_b32_e32 v26, 0xffff, v2
	v_lshlrev_b64 v[2:3], s14, v[26:27]
	s_add_u32 s14, s14, 8
	s_addc_u32 s15, s15, 0
	v_or_b32_e32 v10, v2, v10
	s_cmp_lg_u32 s18, s16
	v_or_b32_e32 v11, v3, v11
	s_cbranch_scc1 .LBB6_508
	s_branch .LBB6_511
.LBB6_509:                              ;   in Loop: Header=BB6_497 Depth=1
	s_mov_b64 s[14:15], -1
                                        ; implicit-def: $vgpr10_vgpr11
                                        ; implicit-def: $sgpr19
	s_branch .LBB6_512
.LBB6_510:                              ;   in Loop: Header=BB6_497 Depth=1
	v_pk_mov_b32 v[10:11], 0, 0
.LBB6_511:                              ;   in Loop: Header=BB6_497 Depth=1
	s_mov_b64 s[14:15], 0
	s_mov_b32 s19, 0
.LBB6_512:                              ;   in Loop: Header=BB6_497 Depth=1
	s_andn2_b64 vcc, exec, s[14:15]
	s_cbranch_vccnz .LBB6_514
; %bb.513:                              ;   in Loop: Header=BB6_497 Depth=1
	global_load_dwordx2 v[10:11], v27, s[4:5]
	s_add_i32 s19, s18, -8
	s_add_u32 s4, s4, 8
	s_addc_u32 s5, s5, 0
.LBB6_514:                              ;   in Loop: Header=BB6_497 Depth=1
	s_cmp_gt_u32 s19, 7
	s_cbranch_scc1 .LBB6_518
; %bb.515:                              ;   in Loop: Header=BB6_497 Depth=1
	s_cmp_eq_u32 s19, 0
	s_cbranch_scc1 .LBB6_519
; %bb.516:                              ;   in Loop: Header=BB6_497 Depth=1
	s_mov_b64 s[14:15], 0
	v_pk_mov_b32 v[12:13], 0, 0
	s_mov_b64 s[16:17], 0
.LBB6_517:                              ;   Parent Loop BB6_497 Depth=1
                                        ; =>  This Inner Loop Header: Depth=2
	s_add_u32 s20, s4, s16
	s_addc_u32 s21, s5, s17
	global_load_ubyte v2, v27, s[20:21]
	s_add_u32 s16, s16, 1
	s_addc_u32 s17, s17, 0
	s_waitcnt vmcnt(0)
	v_and_b32_e32 v26, 0xffff, v2
	v_lshlrev_b64 v[2:3], s14, v[26:27]
	s_add_u32 s14, s14, 8
	s_addc_u32 s15, s15, 0
	v_or_b32_e32 v12, v2, v12
	s_cmp_lg_u32 s19, s16
	v_or_b32_e32 v13, v3, v13
	s_cbranch_scc1 .LBB6_517
	s_branch .LBB6_520
.LBB6_518:                              ;   in Loop: Header=BB6_497 Depth=1
	s_mov_b64 s[14:15], -1
                                        ; implicit-def: $sgpr18
	s_branch .LBB6_521
.LBB6_519:                              ;   in Loop: Header=BB6_497 Depth=1
	v_pk_mov_b32 v[12:13], 0, 0
.LBB6_520:                              ;   in Loop: Header=BB6_497 Depth=1
	s_mov_b64 s[14:15], 0
	s_mov_b32 s18, 0
.LBB6_521:                              ;   in Loop: Header=BB6_497 Depth=1
	s_andn2_b64 vcc, exec, s[14:15]
	s_cbranch_vccnz .LBB6_523
; %bb.522:                              ;   in Loop: Header=BB6_497 Depth=1
	global_load_dwordx2 v[12:13], v27, s[4:5]
	s_add_i32 s18, s19, -8
	s_add_u32 s4, s4, 8
	s_addc_u32 s5, s5, 0
.LBB6_523:                              ;   in Loop: Header=BB6_497 Depth=1
	s_cmp_gt_u32 s18, 7
	s_cbranch_scc1 .LBB6_527
; %bb.524:                              ;   in Loop: Header=BB6_497 Depth=1
	s_cmp_eq_u32 s18, 0
	s_cbranch_scc1 .LBB6_528
; %bb.525:                              ;   in Loop: Header=BB6_497 Depth=1
	s_mov_b64 s[14:15], 0
	v_pk_mov_b32 v[14:15], 0, 0
	s_mov_b64 s[16:17], 0
.LBB6_526:                              ;   Parent Loop BB6_497 Depth=1
                                        ; =>  This Inner Loop Header: Depth=2
	s_add_u32 s20, s4, s16
	s_addc_u32 s21, s5, s17
	global_load_ubyte v2, v27, s[20:21]
	s_add_u32 s16, s16, 1
	s_addc_u32 s17, s17, 0
	s_waitcnt vmcnt(0)
	v_and_b32_e32 v26, 0xffff, v2
	v_lshlrev_b64 v[2:3], s14, v[26:27]
	s_add_u32 s14, s14, 8
	s_addc_u32 s15, s15, 0
	v_or_b32_e32 v14, v2, v14
	s_cmp_lg_u32 s18, s16
	v_or_b32_e32 v15, v3, v15
	s_cbranch_scc1 .LBB6_526
	s_branch .LBB6_529
.LBB6_527:                              ;   in Loop: Header=BB6_497 Depth=1
	s_mov_b64 s[14:15], -1
                                        ; implicit-def: $vgpr14_vgpr15
                                        ; implicit-def: $sgpr19
	s_branch .LBB6_530
.LBB6_528:                              ;   in Loop: Header=BB6_497 Depth=1
	v_pk_mov_b32 v[14:15], 0, 0
.LBB6_529:                              ;   in Loop: Header=BB6_497 Depth=1
	s_mov_b64 s[14:15], 0
	s_mov_b32 s19, 0
.LBB6_530:                              ;   in Loop: Header=BB6_497 Depth=1
	s_andn2_b64 vcc, exec, s[14:15]
	s_cbranch_vccnz .LBB6_532
; %bb.531:                              ;   in Loop: Header=BB6_497 Depth=1
	global_load_dwordx2 v[14:15], v27, s[4:5]
	s_add_i32 s19, s18, -8
	s_add_u32 s4, s4, 8
	s_addc_u32 s5, s5, 0
.LBB6_532:                              ;   in Loop: Header=BB6_497 Depth=1
	s_cmp_gt_u32 s19, 7
	s_cbranch_scc1 .LBB6_536
; %bb.533:                              ;   in Loop: Header=BB6_497 Depth=1
	s_cmp_eq_u32 s19, 0
	s_cbranch_scc1 .LBB6_537
; %bb.534:                              ;   in Loop: Header=BB6_497 Depth=1
	s_mov_b64 s[14:15], 0
	v_pk_mov_b32 v[16:17], 0, 0
	s_mov_b64 s[16:17], 0
.LBB6_535:                              ;   Parent Loop BB6_497 Depth=1
                                        ; =>  This Inner Loop Header: Depth=2
	s_add_u32 s20, s4, s16
	s_addc_u32 s21, s5, s17
	global_load_ubyte v2, v27, s[20:21]
	s_add_u32 s16, s16, 1
	s_addc_u32 s17, s17, 0
	s_waitcnt vmcnt(0)
	v_and_b32_e32 v26, 0xffff, v2
	v_lshlrev_b64 v[2:3], s14, v[26:27]
	s_add_u32 s14, s14, 8
	s_addc_u32 s15, s15, 0
	v_or_b32_e32 v16, v2, v16
	s_cmp_lg_u32 s19, s16
	v_or_b32_e32 v17, v3, v17
	s_cbranch_scc1 .LBB6_535
	s_branch .LBB6_538
.LBB6_536:                              ;   in Loop: Header=BB6_497 Depth=1
	s_mov_b64 s[14:15], -1
                                        ; implicit-def: $sgpr18
	s_branch .LBB6_539
.LBB6_537:                              ;   in Loop: Header=BB6_497 Depth=1
	v_pk_mov_b32 v[16:17], 0, 0
.LBB6_538:                              ;   in Loop: Header=BB6_497 Depth=1
	s_mov_b64 s[14:15], 0
	s_mov_b32 s18, 0
.LBB6_539:                              ;   in Loop: Header=BB6_497 Depth=1
	s_andn2_b64 vcc, exec, s[14:15]
	s_cbranch_vccnz .LBB6_541
; %bb.540:                              ;   in Loop: Header=BB6_497 Depth=1
	global_load_dwordx2 v[16:17], v27, s[4:5]
	s_add_i32 s18, s19, -8
	s_add_u32 s4, s4, 8
	s_addc_u32 s5, s5, 0
.LBB6_541:                              ;   in Loop: Header=BB6_497 Depth=1
	s_cmp_gt_u32 s18, 7
	s_cbranch_scc1 .LBB6_545
; %bb.542:                              ;   in Loop: Header=BB6_497 Depth=1
	s_cmp_eq_u32 s18, 0
	s_cbranch_scc1 .LBB6_546
; %bb.543:                              ;   in Loop: Header=BB6_497 Depth=1
	s_mov_b64 s[14:15], 0
	v_pk_mov_b32 v[18:19], 0, 0
	s_mov_b64 s[16:17], 0
.LBB6_544:                              ;   Parent Loop BB6_497 Depth=1
                                        ; =>  This Inner Loop Header: Depth=2
	s_add_u32 s20, s4, s16
	s_addc_u32 s21, s5, s17
	global_load_ubyte v2, v27, s[20:21]
	s_add_u32 s16, s16, 1
	s_addc_u32 s17, s17, 0
	s_waitcnt vmcnt(0)
	v_and_b32_e32 v26, 0xffff, v2
	v_lshlrev_b64 v[2:3], s14, v[26:27]
	s_add_u32 s14, s14, 8
	s_addc_u32 s15, s15, 0
	v_or_b32_e32 v18, v2, v18
	s_cmp_lg_u32 s18, s16
	v_or_b32_e32 v19, v3, v19
	s_cbranch_scc1 .LBB6_544
	s_branch .LBB6_547
.LBB6_545:                              ;   in Loop: Header=BB6_497 Depth=1
	s_mov_b64 s[14:15], -1
                                        ; implicit-def: $vgpr18_vgpr19
                                        ; implicit-def: $sgpr19
	s_branch .LBB6_548
.LBB6_546:                              ;   in Loop: Header=BB6_497 Depth=1
	v_pk_mov_b32 v[18:19], 0, 0
.LBB6_547:                              ;   in Loop: Header=BB6_497 Depth=1
	s_mov_b64 s[14:15], 0
	s_mov_b32 s19, 0
.LBB6_548:                              ;   in Loop: Header=BB6_497 Depth=1
	s_andn2_b64 vcc, exec, s[14:15]
	s_cbranch_vccnz .LBB6_550
; %bb.549:                              ;   in Loop: Header=BB6_497 Depth=1
	global_load_dwordx2 v[18:19], v27, s[4:5]
	s_add_i32 s19, s18, -8
	s_add_u32 s4, s4, 8
	s_addc_u32 s5, s5, 0
.LBB6_550:                              ;   in Loop: Header=BB6_497 Depth=1
	s_cmp_gt_u32 s19, 7
	s_cbranch_scc1 .LBB6_554
; %bb.551:                              ;   in Loop: Header=BB6_497 Depth=1
	s_cmp_eq_u32 s19, 0
	s_cbranch_scc1 .LBB6_555
; %bb.552:                              ;   in Loop: Header=BB6_497 Depth=1
	s_mov_b64 s[14:15], 0
	v_pk_mov_b32 v[20:21], 0, 0
	s_mov_b64 s[16:17], s[4:5]
.LBB6_553:                              ;   Parent Loop BB6_497 Depth=1
                                        ; =>  This Inner Loop Header: Depth=2
	global_load_ubyte v2, v27, s[16:17]
	s_add_i32 s19, s19, -1
	s_waitcnt vmcnt(0)
	v_and_b32_e32 v26, 0xffff, v2
	v_lshlrev_b64 v[2:3], s14, v[26:27]
	s_add_u32 s14, s14, 8
	s_addc_u32 s15, s15, 0
	s_add_u32 s16, s16, 1
	s_addc_u32 s17, s17, 0
	v_or_b32_e32 v20, v2, v20
	s_cmp_lg_u32 s19, 0
	v_or_b32_e32 v21, v3, v21
	s_cbranch_scc1 .LBB6_553
	s_branch .LBB6_556
.LBB6_554:                              ;   in Loop: Header=BB6_497 Depth=1
	s_mov_b64 s[14:15], -1
	s_branch .LBB6_557
.LBB6_555:                              ;   in Loop: Header=BB6_497 Depth=1
	v_pk_mov_b32 v[20:21], 0, 0
.LBB6_556:                              ;   in Loop: Header=BB6_497 Depth=1
	s_mov_b64 s[14:15], 0
.LBB6_557:                              ;   in Loop: Header=BB6_497 Depth=1
	s_andn2_b64 vcc, exec, s[14:15]
	s_cbranch_vccnz .LBB6_559
; %bb.558:                              ;   in Loop: Header=BB6_497 Depth=1
	global_load_dwordx2 v[20:21], v27, s[4:5]
.LBB6_559:                              ;   in Loop: Header=BB6_497 Depth=1
	v_readfirstlane_b32 s4, v31
	v_cmp_eq_u32_e64 s[4:5], s4, v31
	v_pk_mov_b32 v[2:3], 0, 0
	s_and_saveexec_b64 s[14:15], s[4:5]
	s_cbranch_execz .LBB6_565
; %bb.560:                              ;   in Loop: Header=BB6_497 Depth=1
	global_load_dwordx2 v[24:25], v27, s[6:7] offset:24 glc
	s_waitcnt vmcnt(0)
	buffer_invl2
	buffer_wbinvl1_vol
	global_load_dwordx2 v[2:3], v27, s[6:7] offset:40
	global_load_dwordx2 v[22:23], v27, s[6:7]
	s_waitcnt vmcnt(1)
	v_and_b32_e32 v2, v2, v24
	v_and_b32_e32 v3, v3, v25
	v_mul_lo_u32 v3, v3, 24
	v_mul_hi_u32 v26, v2, 24
	v_mul_lo_u32 v2, v2, 24
	v_add_u32_e32 v3, v26, v3
	s_waitcnt vmcnt(0)
	v_add_co_u32_e32 v2, vcc, v22, v2
	v_addc_co_u32_e32 v3, vcc, v23, v3, vcc
	global_load_dwordx2 v[22:23], v[2:3], off glc
	s_waitcnt vmcnt(0)
	global_atomic_cmpswap_x2 v[2:3], v27, v[22:25], s[6:7] offset:24 glc
	s_waitcnt vmcnt(0)
	buffer_invl2
	buffer_wbinvl1_vol
	v_cmp_ne_u64_e32 vcc, v[2:3], v[24:25]
	s_and_saveexec_b64 s[16:17], vcc
	s_cbranch_execz .LBB6_564
; %bb.561:                              ;   in Loop: Header=BB6_497 Depth=1
	s_mov_b64 s[18:19], 0
.LBB6_562:                              ;   Parent Loop BB6_497 Depth=1
                                        ; =>  This Inner Loop Header: Depth=2
	s_sleep 1
	global_load_dwordx2 v[22:23], v27, s[6:7] offset:40
	global_load_dwordx2 v[28:29], v27, s[6:7]
	v_pk_mov_b32 v[24:25], v[2:3], v[2:3] op_sel:[0,1]
	s_waitcnt vmcnt(1)
	v_and_b32_e32 v2, v22, v24
	s_waitcnt vmcnt(0)
	v_mad_u64_u32 v[2:3], s[20:21], v2, 24, v[28:29]
	v_and_b32_e32 v23, v23, v25
	v_mov_b32_e32 v22, v3
	v_mad_u64_u32 v[22:23], s[20:21], v23, 24, v[22:23]
	v_mov_b32_e32 v3, v22
	global_load_dwordx2 v[22:23], v[2:3], off glc
	s_waitcnt vmcnt(0)
	global_atomic_cmpswap_x2 v[2:3], v27, v[22:25], s[6:7] offset:24 glc
	s_waitcnt vmcnt(0)
	buffer_invl2
	buffer_wbinvl1_vol
	v_cmp_eq_u64_e32 vcc, v[2:3], v[24:25]
	s_or_b64 s[18:19], vcc, s[18:19]
	s_andn2_b64 exec, exec, s[18:19]
	s_cbranch_execnz .LBB6_562
; %bb.563:                              ;   in Loop: Header=BB6_497 Depth=1
	s_or_b64 exec, exec, s[18:19]
.LBB6_564:                              ;   in Loop: Header=BB6_497 Depth=1
	s_or_b64 exec, exec, s[16:17]
.LBB6_565:                              ;   in Loop: Header=BB6_497 Depth=1
	s_or_b64 exec, exec, s[14:15]
	global_load_dwordx2 v[28:29], v27, s[6:7] offset:40
	global_load_dwordx4 v[22:25], v27, s[6:7]
	v_readfirstlane_b32 s14, v2
	v_readfirstlane_b32 s15, v3
	s_mov_b64 s[16:17], exec
	s_waitcnt vmcnt(1)
	v_readfirstlane_b32 s18, v28
	v_readfirstlane_b32 s19, v29
	s_and_b64 s[18:19], s[14:15], s[18:19]
	s_mul_i32 s20, s19, 24
	s_mul_hi_u32 s21, s18, 24
	s_mul_i32 s22, s18, 24
	s_add_i32 s20, s21, s20
	v_mov_b32_e32 v2, s20
	s_waitcnt vmcnt(0)
	v_add_co_u32_e32 v28, vcc, s22, v22
	v_addc_co_u32_e32 v29, vcc, v23, v2, vcc
	s_and_saveexec_b64 s[20:21], s[4:5]
	s_cbranch_execz .LBB6_567
; %bb.566:                              ;   in Loop: Header=BB6_497 Depth=1
	v_pk_mov_b32 v[2:3], s[16:17], s[16:17] op_sel:[0,1]
	global_store_dwordx4 v[28:29], v[2:5], off offset:8
.LBB6_567:                              ;   in Loop: Header=BB6_497 Depth=1
	s_or_b64 exec, exec, s[20:21]
	s_lshl_b64 s[16:17], s[18:19], 12
	v_mov_b32_e32 v3, s17
	v_add_co_u32_e32 v2, vcc, s16, v24
	v_addc_co_u32_e32 v3, vcc, v25, v3, vcc
	v_or_b32_e32 v24, 2, v6
	v_cmp_gt_u64_e64 vcc, s[10:11], 56
	s_lshl_b32 s16, s12, 2
	v_cndmask_b32_e32 v6, v24, v6, vcc
	s_add_i32 s16, s16, 28
	s_and_b32 s16, s16, 0x1e0
	v_and_b32_e32 v6, 0xffffff1f, v6
	v_or_b32_e32 v6, s16, v6
	v_readfirstlane_b32 s16, v2
	v_readfirstlane_b32 s17, v3
	s_nop 4
	global_store_dwordx4 v30, v[6:9], s[16:17]
	global_store_dwordx4 v30, v[10:13], s[16:17] offset:16
	global_store_dwordx4 v30, v[14:17], s[16:17] offset:32
	;; [unrolled: 1-line block ×3, first 2 shown]
	s_and_saveexec_b64 s[16:17], s[4:5]
	s_cbranch_execz .LBB6_575
; %bb.568:                              ;   in Loop: Header=BB6_497 Depth=1
	global_load_dwordx2 v[14:15], v27, s[6:7] offset:32 glc
	global_load_dwordx2 v[6:7], v27, s[6:7] offset:40
	v_mov_b32_e32 v12, s14
	v_mov_b32_e32 v13, s15
	s_waitcnt vmcnt(0)
	v_readfirstlane_b32 s18, v6
	v_readfirstlane_b32 s19, v7
	s_and_b64 s[18:19], s[18:19], s[14:15]
	s_mul_i32 s19, s19, 24
	s_mul_hi_u32 s20, s18, 24
	s_mul_i32 s18, s18, 24
	s_add_i32 s19, s20, s19
	v_mov_b32_e32 v6, s19
	v_add_co_u32_e32 v10, vcc, s18, v22
	v_addc_co_u32_e32 v11, vcc, v23, v6, vcc
	global_store_dwordx2 v[10:11], v[14:15], off
	buffer_wbl2
	s_waitcnt vmcnt(0)
	global_atomic_cmpswap_x2 v[8:9], v27, v[12:15], s[6:7] offset:32 glc
	s_waitcnt vmcnt(0)
	v_cmp_ne_u64_e32 vcc, v[8:9], v[14:15]
	s_and_saveexec_b64 s[18:19], vcc
	s_cbranch_execz .LBB6_571
; %bb.569:                              ;   in Loop: Header=BB6_497 Depth=1
	s_mov_b64 s[20:21], 0
.LBB6_570:                              ;   Parent Loop BB6_497 Depth=1
                                        ; =>  This Inner Loop Header: Depth=2
	s_sleep 1
	global_store_dwordx2 v[10:11], v[8:9], off
	v_mov_b32_e32 v6, s14
	v_mov_b32_e32 v7, s15
	buffer_wbl2
	s_waitcnt vmcnt(0)
	global_atomic_cmpswap_x2 v[6:7], v27, v[6:9], s[6:7] offset:32 glc
	s_waitcnt vmcnt(0)
	v_cmp_eq_u64_e32 vcc, v[6:7], v[8:9]
	s_or_b64 s[20:21], vcc, s[20:21]
	v_pk_mov_b32 v[8:9], v[6:7], v[6:7] op_sel:[0,1]
	s_andn2_b64 exec, exec, s[20:21]
	s_cbranch_execnz .LBB6_570
.LBB6_571:                              ;   in Loop: Header=BB6_497 Depth=1
	s_or_b64 exec, exec, s[18:19]
	global_load_dwordx2 v[6:7], v27, s[6:7] offset:16
	s_mov_b64 s[20:21], exec
	v_mbcnt_lo_u32_b32 v8, s20, 0
	v_mbcnt_hi_u32_b32 v8, s21, v8
	v_cmp_eq_u32_e32 vcc, 0, v8
	s_and_saveexec_b64 s[18:19], vcc
	s_cbranch_execz .LBB6_573
; %bb.572:                              ;   in Loop: Header=BB6_497 Depth=1
	s_bcnt1_i32_b64 s20, s[20:21]
	v_mov_b32_e32 v26, s20
	buffer_wbl2
	s_waitcnt vmcnt(0)
	global_atomic_add_x2 v[6:7], v[26:27], off offset:8
.LBB6_573:                              ;   in Loop: Header=BB6_497 Depth=1
	s_or_b64 exec, exec, s[18:19]
	s_waitcnt vmcnt(0)
	global_load_dwordx2 v[8:9], v[6:7], off offset:16
	s_waitcnt vmcnt(0)
	v_cmp_eq_u64_e32 vcc, 0, v[8:9]
	s_cbranch_vccnz .LBB6_575
; %bb.574:                              ;   in Loop: Header=BB6_497 Depth=1
	global_load_dword v26, v[6:7], off offset:24
	s_waitcnt vmcnt(0)
	v_and_b32_e32 v6, 0xffffff, v26
	v_readfirstlane_b32 m0, v6
	buffer_wbl2
	global_store_dwordx2 v[8:9], v[26:27], off
	s_sendmsg sendmsg(MSG_INTERRUPT)
.LBB6_575:                              ;   in Loop: Header=BB6_497 Depth=1
	s_or_b64 exec, exec, s[16:17]
	v_add_co_u32_e32 v2, vcc, v2, v30
	v_addc_co_u32_e32 v3, vcc, 0, v3, vcc
	s_branch .LBB6_577
.LBB6_576:                              ;   in Loop: Header=BB6_497 Depth=1
	s_branch .LBB6_581
.LBB6_577:                              ;   Parent Loop BB6_497 Depth=1
                                        ; =>  This Inner Loop Header: Depth=2
	v_mov_b32_e32 v6, 1
	s_and_saveexec_b64 s[16:17], s[4:5]
	s_cbranch_execz .LBB6_579
; %bb.578:                              ;   in Loop: Header=BB6_577 Depth=2
	global_load_dword v6, v[28:29], off offset:20 glc
	s_waitcnt vmcnt(0)
	buffer_invl2
	buffer_wbinvl1_vol
	v_and_b32_e32 v6, 1, v6
.LBB6_579:                              ;   in Loop: Header=BB6_577 Depth=2
	s_or_b64 exec, exec, s[16:17]
	v_readfirstlane_b32 s16, v6
	s_cmp_eq_u32 s16, 0
	s_cbranch_scc1 .LBB6_576
; %bb.580:                              ;   in Loop: Header=BB6_577 Depth=2
	s_sleep 1
	s_cbranch_execnz .LBB6_577
.LBB6_581:                              ;   in Loop: Header=BB6_497 Depth=1
	global_load_dwordx4 v[6:9], v[2:3], off
	s_and_saveexec_b64 s[16:17], s[4:5]
	s_cbranch_execz .LBB6_496
; %bb.582:                              ;   in Loop: Header=BB6_497 Depth=1
	global_load_dwordx2 v[2:3], v27, s[6:7] offset:40
	global_load_dwordx2 v[12:13], v27, s[6:7] offset:24 glc
	global_load_dwordx2 v[14:15], v27, s[6:7]
	s_waitcnt vmcnt(3)
	v_mov_b32_e32 v9, s15
	s_waitcnt vmcnt(2)
	v_add_co_u32_e32 v11, vcc, 1, v2
	v_addc_co_u32_e32 v16, vcc, 0, v3, vcc
	v_add_co_u32_e32 v8, vcc, s14, v11
	v_addc_co_u32_e32 v9, vcc, v16, v9, vcc
	v_cmp_eq_u64_e32 vcc, 0, v[8:9]
	v_cndmask_b32_e32 v9, v9, v16, vcc
	v_cndmask_b32_e32 v8, v8, v11, vcc
	v_and_b32_e32 v3, v9, v3
	v_and_b32_e32 v2, v8, v2
	v_mul_lo_u32 v3, v3, 24
	v_mul_hi_u32 v11, v2, 24
	v_mul_lo_u32 v2, v2, 24
	v_add_u32_e32 v3, v11, v3
	s_waitcnt vmcnt(0)
	v_add_co_u32_e32 v2, vcc, v14, v2
	v_addc_co_u32_e32 v3, vcc, v15, v3, vcc
	v_mov_b32_e32 v10, v12
	global_store_dwordx2 v[2:3], v[12:13], off
	v_mov_b32_e32 v11, v13
	buffer_wbl2
	s_waitcnt vmcnt(0)
	global_atomic_cmpswap_x2 v[10:11], v27, v[8:11], s[6:7] offset:24 glc
	s_waitcnt vmcnt(0)
	v_cmp_ne_u64_e32 vcc, v[10:11], v[12:13]
	s_and_b64 exec, exec, vcc
	s_cbranch_execz .LBB6_496
; %bb.583:                              ;   in Loop: Header=BB6_497 Depth=1
	s_mov_b64 s[4:5], 0
.LBB6_584:                              ;   Parent Loop BB6_497 Depth=1
                                        ; =>  This Inner Loop Header: Depth=2
	s_sleep 1
	global_store_dwordx2 v[2:3], v[10:11], off
	buffer_wbl2
	s_waitcnt vmcnt(0)
	global_atomic_cmpswap_x2 v[12:13], v27, v[8:11], s[6:7] offset:24 glc
	s_waitcnt vmcnt(0)
	v_cmp_eq_u64_e32 vcc, v[12:13], v[10:11]
	s_or_b64 s[4:5], vcc, s[4:5]
	v_pk_mov_b32 v[10:11], v[12:13], v[12:13] op_sel:[0,1]
	s_andn2_b64 exec, exec, s[4:5]
	s_cbranch_execnz .LBB6_584
	s_branch .LBB6_496
.LBB6_585:
	s_mov_b64 s[4:5], 0
	s_branch .LBB6_587
.LBB6_586:
	s_mov_b64 s[4:5], -1
.LBB6_587:
	s_and_b64 vcc, exec, s[4:5]
	s_cbranch_vccz .LBB6_614
; %bb.588:
	v_readfirstlane_b32 s4, v31
	v_cmp_eq_u32_e64 s[4:5], s4, v31
	s_waitcnt vmcnt(0)
	v_pk_mov_b32 v[8:9], 0, 0
	s_and_saveexec_b64 s[8:9], s[4:5]
	s_cbranch_execz .LBB6_594
; %bb.589:
	v_mov_b32_e32 v2, 0
	global_load_dwordx2 v[6:7], v2, s[6:7] offset:24 glc
	s_waitcnt vmcnt(0)
	buffer_invl2
	buffer_wbinvl1_vol
	global_load_dwordx2 v[4:5], v2, s[6:7] offset:40
	global_load_dwordx2 v[8:9], v2, s[6:7]
	s_waitcnt vmcnt(1)
	v_and_b32_e32 v3, v4, v6
	v_and_b32_e32 v4, v5, v7
	v_mul_lo_u32 v4, v4, 24
	v_mul_hi_u32 v5, v3, 24
	v_mul_lo_u32 v3, v3, 24
	v_add_u32_e32 v5, v5, v4
	s_waitcnt vmcnt(0)
	v_add_co_u32_e32 v4, vcc, v8, v3
	v_addc_co_u32_e32 v5, vcc, v9, v5, vcc
	global_load_dwordx2 v[4:5], v[4:5], off glc
	s_waitcnt vmcnt(0)
	global_atomic_cmpswap_x2 v[8:9], v2, v[4:7], s[6:7] offset:24 glc
	s_waitcnt vmcnt(0)
	buffer_invl2
	buffer_wbinvl1_vol
	v_cmp_ne_u64_e32 vcc, v[8:9], v[6:7]
	s_and_saveexec_b64 s[10:11], vcc
	s_cbranch_execz .LBB6_593
; %bb.590:
	s_mov_b64 s[12:13], 0
.LBB6_591:                              ; =>This Inner Loop Header: Depth=1
	s_sleep 1
	global_load_dwordx2 v[4:5], v2, s[6:7] offset:40
	global_load_dwordx2 v[10:11], v2, s[6:7]
	v_pk_mov_b32 v[6:7], v[8:9], v[8:9] op_sel:[0,1]
	s_waitcnt vmcnt(1)
	v_and_b32_e32 v4, v4, v6
	v_and_b32_e32 v3, v5, v7
	s_waitcnt vmcnt(0)
	v_mad_u64_u32 v[4:5], s[14:15], v4, 24, v[10:11]
	v_mov_b32_e32 v8, v5
	v_mad_u64_u32 v[8:9], s[14:15], v3, 24, v[8:9]
	v_mov_b32_e32 v5, v8
	global_load_dwordx2 v[4:5], v[4:5], off glc
	s_waitcnt vmcnt(0)
	global_atomic_cmpswap_x2 v[8:9], v2, v[4:7], s[6:7] offset:24 glc
	s_waitcnt vmcnt(0)
	buffer_invl2
	buffer_wbinvl1_vol
	v_cmp_eq_u64_e32 vcc, v[8:9], v[6:7]
	s_or_b64 s[12:13], vcc, s[12:13]
	s_andn2_b64 exec, exec, s[12:13]
	s_cbranch_execnz .LBB6_591
; %bb.592:
	s_or_b64 exec, exec, s[12:13]
.LBB6_593:
	s_or_b64 exec, exec, s[10:11]
.LBB6_594:
	s_or_b64 exec, exec, s[8:9]
	v_mov_b32_e32 v2, 0
	global_load_dwordx2 v[10:11], v2, s[6:7] offset:40
	global_load_dwordx4 v[4:7], v2, s[6:7]
	v_readfirstlane_b32 s8, v8
	v_readfirstlane_b32 s9, v9
	s_mov_b64 s[10:11], exec
	s_waitcnt vmcnt(1)
	v_readfirstlane_b32 s12, v10
	v_readfirstlane_b32 s13, v11
	s_and_b64 s[12:13], s[8:9], s[12:13]
	s_mul_i32 s14, s13, 24
	s_mul_hi_u32 s15, s12, 24
	s_mul_i32 s16, s12, 24
	s_add_i32 s14, s15, s14
	v_mov_b32_e32 v3, s14
	s_waitcnt vmcnt(0)
	v_add_co_u32_e32 v8, vcc, s16, v4
	v_addc_co_u32_e32 v9, vcc, v5, v3, vcc
	s_and_saveexec_b64 s[14:15], s[4:5]
	s_cbranch_execz .LBB6_596
; %bb.595:
	v_pk_mov_b32 v[10:11], s[10:11], s[10:11] op_sel:[0,1]
	v_mov_b32_e32 v12, 2
	v_mov_b32_e32 v13, 1
	global_store_dwordx4 v[8:9], v[10:13], off offset:8
.LBB6_596:
	s_or_b64 exec, exec, s[14:15]
	s_lshl_b64 s[10:11], s[12:13], 12
	v_mov_b32_e32 v3, s11
	v_add_co_u32_e32 v6, vcc, s10, v6
	v_addc_co_u32_e32 v7, vcc, v7, v3, vcc
	s_movk_i32 s10, 0xff1d
	s_mov_b32 s12, 0
	v_and_or_b32 v0, v0, s10, 34
	v_mov_b32_e32 v3, v2
	v_readfirstlane_b32 s10, v6
	v_readfirstlane_b32 s11, v7
	s_mov_b32 s13, s12
	s_mov_b32 s14, s12
	;; [unrolled: 1-line block ×3, first 2 shown]
	s_nop 1
	global_store_dwordx4 v30, v[0:3], s[10:11]
	s_nop 0
	v_pk_mov_b32 v[0:1], s[12:13], s[12:13] op_sel:[0,1]
	v_pk_mov_b32 v[2:3], s[14:15], s[14:15] op_sel:[0,1]
	global_store_dwordx4 v30, v[0:3], s[10:11] offset:16
	global_store_dwordx4 v30, v[0:3], s[10:11] offset:32
	;; [unrolled: 1-line block ×3, first 2 shown]
	s_and_saveexec_b64 s[10:11], s[4:5]
	s_cbranch_execz .LBB6_604
; %bb.597:
	v_mov_b32_e32 v6, 0
	global_load_dwordx2 v[12:13], v6, s[6:7] offset:32 glc
	global_load_dwordx2 v[0:1], v6, s[6:7] offset:40
	v_mov_b32_e32 v10, s8
	v_mov_b32_e32 v11, s9
	s_waitcnt vmcnt(0)
	v_readfirstlane_b32 s12, v0
	v_readfirstlane_b32 s13, v1
	s_and_b64 s[12:13], s[12:13], s[8:9]
	s_mul_i32 s13, s13, 24
	s_mul_hi_u32 s14, s12, 24
	s_mul_i32 s12, s12, 24
	s_add_i32 s13, s14, s13
	v_mov_b32_e32 v0, s13
	v_add_co_u32_e32 v4, vcc, s12, v4
	v_addc_co_u32_e32 v5, vcc, v5, v0, vcc
	global_store_dwordx2 v[4:5], v[12:13], off
	buffer_wbl2
	s_waitcnt vmcnt(0)
	global_atomic_cmpswap_x2 v[2:3], v6, v[10:13], s[6:7] offset:32 glc
	s_waitcnt vmcnt(0)
	v_cmp_ne_u64_e32 vcc, v[2:3], v[12:13]
	s_and_saveexec_b64 s[12:13], vcc
	s_cbranch_execz .LBB6_600
; %bb.598:
	s_mov_b64 s[14:15], 0
.LBB6_599:                              ; =>This Inner Loop Header: Depth=1
	s_sleep 1
	global_store_dwordx2 v[4:5], v[2:3], off
	v_mov_b32_e32 v0, s8
	v_mov_b32_e32 v1, s9
	buffer_wbl2
	s_waitcnt vmcnt(0)
	global_atomic_cmpswap_x2 v[0:1], v6, v[0:3], s[6:7] offset:32 glc
	s_waitcnt vmcnt(0)
	v_cmp_eq_u64_e32 vcc, v[0:1], v[2:3]
	s_or_b64 s[14:15], vcc, s[14:15]
	v_pk_mov_b32 v[2:3], v[0:1], v[0:1] op_sel:[0,1]
	s_andn2_b64 exec, exec, s[14:15]
	s_cbranch_execnz .LBB6_599
.LBB6_600:
	s_or_b64 exec, exec, s[12:13]
	v_mov_b32_e32 v3, 0
	global_load_dwordx2 v[0:1], v3, s[6:7] offset:16
	s_mov_b64 s[12:13], exec
	v_mbcnt_lo_u32_b32 v2, s12, 0
	v_mbcnt_hi_u32_b32 v2, s13, v2
	v_cmp_eq_u32_e32 vcc, 0, v2
	s_and_saveexec_b64 s[14:15], vcc
	s_cbranch_execz .LBB6_602
; %bb.601:
	s_bcnt1_i32_b64 s12, s[12:13]
	v_mov_b32_e32 v2, s12
	buffer_wbl2
	s_waitcnt vmcnt(0)
	global_atomic_add_x2 v[0:1], v[2:3], off offset:8
.LBB6_602:
	s_or_b64 exec, exec, s[14:15]
	s_waitcnt vmcnt(0)
	global_load_dwordx2 v[2:3], v[0:1], off offset:16
	s_waitcnt vmcnt(0)
	v_cmp_eq_u64_e32 vcc, 0, v[2:3]
	s_cbranch_vccnz .LBB6_604
; %bb.603:
	global_load_dword v0, v[0:1], off offset:24
	v_mov_b32_e32 v1, 0
	buffer_wbl2
	s_waitcnt vmcnt(0)
	global_store_dwordx2 v[2:3], v[0:1], off
	v_and_b32_e32 v0, 0xffffff, v0
	v_readfirstlane_b32 m0, v0
	s_sendmsg sendmsg(MSG_INTERRUPT)
.LBB6_604:
	s_or_b64 exec, exec, s[10:11]
	s_branch .LBB6_606
.LBB6_605:
	s_branch .LBB6_610
.LBB6_606:                              ; =>This Inner Loop Header: Depth=1
	v_mov_b32_e32 v0, 1
	s_and_saveexec_b64 s[10:11], s[4:5]
	s_cbranch_execz .LBB6_608
; %bb.607:                              ;   in Loop: Header=BB6_606 Depth=1
	global_load_dword v0, v[8:9], off offset:20 glc
	s_waitcnt vmcnt(0)
	buffer_invl2
	buffer_wbinvl1_vol
	v_and_b32_e32 v0, 1, v0
.LBB6_608:                              ;   in Loop: Header=BB6_606 Depth=1
	s_or_b64 exec, exec, s[10:11]
	v_readfirstlane_b32 s10, v0
	s_cmp_eq_u32 s10, 0
	s_cbranch_scc1 .LBB6_605
; %bb.609:                              ;   in Loop: Header=BB6_606 Depth=1
	s_sleep 1
	s_cbranch_execnz .LBB6_606
.LBB6_610:
	s_and_saveexec_b64 s[10:11], s[4:5]
	s_cbranch_execz .LBB6_613
; %bb.611:
	v_mov_b32_e32 v6, 0
	global_load_dwordx2 v[4:5], v6, s[6:7] offset:40
	global_load_dwordx2 v[8:9], v6, s[6:7] offset:24 glc
	global_load_dwordx2 v[10:11], v6, s[6:7]
	v_mov_b32_e32 v1, s9
	s_mov_b64 s[4:5], 0
	s_waitcnt vmcnt(2)
	v_add_co_u32_e32 v3, vcc, 1, v4
	v_addc_co_u32_e32 v7, vcc, 0, v5, vcc
	v_add_co_u32_e32 v0, vcc, s8, v3
	v_addc_co_u32_e32 v1, vcc, v7, v1, vcc
	v_cmp_eq_u64_e32 vcc, 0, v[0:1]
	v_cndmask_b32_e32 v1, v1, v7, vcc
	v_cndmask_b32_e32 v0, v0, v3, vcc
	v_and_b32_e32 v3, v1, v5
	v_and_b32_e32 v4, v0, v4
	v_mul_lo_u32 v3, v3, 24
	v_mul_hi_u32 v5, v4, 24
	v_mul_lo_u32 v4, v4, 24
	v_add_u32_e32 v3, v5, v3
	s_waitcnt vmcnt(0)
	v_add_co_u32_e32 v4, vcc, v10, v4
	v_addc_co_u32_e32 v5, vcc, v11, v3, vcc
	v_mov_b32_e32 v2, v8
	global_store_dwordx2 v[4:5], v[8:9], off
	v_mov_b32_e32 v3, v9
	buffer_wbl2
	s_waitcnt vmcnt(0)
	global_atomic_cmpswap_x2 v[2:3], v6, v[0:3], s[6:7] offset:24 glc
	s_waitcnt vmcnt(0)
	v_cmp_ne_u64_e32 vcc, v[2:3], v[8:9]
	s_and_b64 exec, exec, vcc
	s_cbranch_execz .LBB6_613
.LBB6_612:                              ; =>This Inner Loop Header: Depth=1
	s_sleep 1
	global_store_dwordx2 v[4:5], v[2:3], off
	buffer_wbl2
	s_waitcnt vmcnt(0)
	global_atomic_cmpswap_x2 v[8:9], v6, v[0:3], s[6:7] offset:24 glc
	s_waitcnt vmcnt(0)
	v_cmp_eq_u64_e32 vcc, v[8:9], v[2:3]
	s_or_b64 s[4:5], vcc, s[4:5]
	v_pk_mov_b32 v[2:3], v[8:9], v[8:9] op_sel:[0,1]
	s_andn2_b64 exec, exec, s[4:5]
	s_cbranch_execnz .LBB6_612
.LBB6_613:
	s_or_b64 exec, exec, s[10:11]
.LBB6_614:
	s_getpc_b64 s[4:5]
	s_add_u32 s4, s4, .str.29@rel32@lo+4
	s_addc_u32 s5, s5, .str.29@rel32@hi+12
	s_getpc_b64 s[6:7]
	s_add_u32 s6, s6, .str.19@rel32@lo+4
	s_addc_u32 s7, s7, .str.19@rel32@hi+12
	s_getpc_b64 s[10:11]
	s_add_u32 s10, s10, __PRETTY_FUNCTION__._ZN7VecsMemIjLi8192EE5fetchEi@rel32@lo+4
	s_addc_u32 s11, s11, __PRETTY_FUNCTION__._ZN7VecsMemIjLi8192EE5fetchEi@rel32@hi+12
	s_mov_b64 s[8:9], s[48:49]
	s_waitcnt vmcnt(0)
	v_mov_b32_e32 v0, s4
	v_mov_b32_e32 v1, s5
	;; [unrolled: 1-line block ×7, first 2 shown]
	s_getpc_b64 s[12:13]
	s_add_u32 s12, s12, __assert_fail@rel32@lo+4
	s_addc_u32 s13, s13, __assert_fail@rel32@hi+12
	s_swappc_b64 s[30:31], s[12:13]
	v_accvgpr_read_b32 v21, a1
	v_accvgpr_read_b32 v23, a3
	;; [unrolled: 1-line block ×3, first 2 shown]
	s_or_b64 s[4:5], s[64:65], exec
	v_accvgpr_read_b32 v20, a0
	v_accvgpr_read_b32 v22, a2
	;; [unrolled: 1-line block ×3, first 2 shown]
.LBB6_615:
	s_or_b64 exec, exec, s[26:27]
	s_andn2_b64 s[6:7], s[64:65], exec
	s_and_b64 s[4:5], s[4:5], exec
	s_or_b64 s[26:27], s[6:7], s[4:5]
	s_orn2_b64 s[4:5], s[68:69], exec
.LBB6_616:
	s_or_b64 exec, exec, s[44:45]
	s_mov_b64 s[6:7], 0
                                        ; implicit-def: $vgpr40
	s_and_saveexec_b64 s[78:79], s[4:5]
	s_cbranch_execz .LBB6_795
; %bb.617:
	s_mov_b32 s15, 0
	v_cmp_lt_i32_e32 vcc, 0, v44
	s_mov_b64 s[4:5], -1
	s_mov_b64 s[44:45], 0
	v_mov_b32_e32 v57, 0
	s_mov_b64 s[72:73], 0
	buffer_store_dword v55, off, s[0:3], s33 offset:156
	buffer_store_dword v54, off, s[0:3], s33 offset:152
	s_and_saveexec_b64 s[12:13], vcc
	s_cbranch_execz .LBB6_671
; %bb.618:
	buffer_load_dword v0, off, s[0:3], s33 offset:168
	buffer_load_dword v1, off, s[0:3], s33 offset:172
	v_add_co_u32_e64 v2, s[4:5], 4, v58
	v_cmp_lt_i32_e32 vcc, 0, v42
	v_addc_co_u32_e64 v3, s[4:5], 0, v59, s[4:5]
	s_mov_b64 s[18:19], 0
	v_mov_b32_e32 v6, 0
	v_mov_b32_e32 v5, 0
	s_mov_b32 s20, s15
	v_mov_b32_e32 v12, 0
                                        ; implicit-def: $sgpr16_sgpr17
	s_branch .LBB6_620
.LBB6_619:                              ;   in Loop: Header=BB6_620 Depth=1
	s_or_b64 exec, exec, s[10:11]
	s_xor_b64 s[6:7], s[6:7], -1
	s_and_b64 s[4:5], exec, s[4:5]
	s_or_b64 s[18:19], s[4:5], s[18:19]
	s_andn2_b64 s[4:5], s[16:17], exec
	s_and_b64 s[6:7], s[6:7], exec
	s_or_b64 s[16:17], s[4:5], s[6:7]
	s_andn2_b64 exec, exec, s[18:19]
	s_cbranch_execz .LBB6_668
.LBB6_620:                              ; =>This Loop Header: Depth=1
                                        ;     Child Loop BB6_624 Depth 2
                                        ;     Child Loop BB6_631 Depth 2
                                        ;       Child Loop BB6_635 Depth 3
                                        ;     Child Loop BB6_646 Depth 2
                                        ;       Child Loop BB6_652 Depth 3
	s_mov_b32 s21, s15
	s_lshl_b64 s[4:5], s[20:21], 2
	v_mov_b32_e32 v4, s5
	v_add_co_u32_e64 v8, s[4:5], s4, v58
	v_addc_co_u32_e64 v9, s[4:5], v59, v4, s[4:5]
	flat_load_dword v4, v[8:9]
	s_mov_b64 s[8:9], -1
                                        ; implicit-def: $sgpr6_sgpr7
	s_waitcnt vmcnt(0) lgkmcnt(0)
	v_cmp_lt_i32_e64 s[4:5], -1, v4
	s_and_saveexec_b64 s[22:23], s[4:5]
	s_cbranch_execz .LBB6_666
; %bb.621:                              ;   in Loop: Header=BB6_620 Depth=1
	v_mov_b32_e32 v7, -1
	v_mov_b32_e32 v13, 0
	s_and_saveexec_b64 s[6:7], vcc
	s_cbranch_execz .LBB6_627
; %bb.622:                              ;   in Loop: Header=BB6_620 Depth=1
	s_mov_b32 s14, 0
	s_mov_b64 s[8:9], 0
	v_pk_mov_b32 v[10:11], v[0:1], v[0:1] op_sel:[0,1]
                                        ; implicit-def: $sgpr10_sgpr11
	s_branch .LBB6_624
.LBB6_623:                              ;   in Loop: Header=BB6_624 Depth=2
	s_or_b64 exec, exec, s[24:25]
	s_and_b64 s[4:5], exec, s[10:11]
	s_or_b64 s[8:9], s[4:5], s[8:9]
	s_andn2_b64 exec, exec, s[8:9]
	s_cbranch_execz .LBB6_626
.LBB6_624:                              ;   Parent Loop BB6_620 Depth=1
                                        ; =>  This Inner Loop Header: Depth=2
	flat_load_dword v7, v[10:11]
	v_mov_b32_e32 v13, s14
	s_or_b64 s[10:11], s[10:11], exec
	s_waitcnt vmcnt(0) lgkmcnt(0)
	v_and_b32_e32 v14, v7, v4
	v_cmp_ne_u32_e64 s[4:5], v14, v7
	s_and_saveexec_b64 s[24:25], s[4:5]
	s_cbranch_execz .LBB6_623
; %bb.625:                              ;   in Loop: Header=BB6_624 Depth=2
	v_add_co_u32_e64 v10, s[4:5], 4, v10
	s_add_i32 s14, s14, 1
	v_addc_co_u32_e64 v11, s[4:5], 0, v11, s[4:5]
	v_cmp_eq_u32_e64 s[4:5], s14, v42
	s_andn2_b64 s[10:11], s[10:11], exec
	s_and_b64 s[4:5], s[4:5], exec
	s_or_b64 s[10:11], s[10:11], s[4:5]
	v_mov_b32_e32 v13, v42
	s_branch .LBB6_623
.LBB6_626:                              ;   in Loop: Header=BB6_620 Depth=1
	s_or_b64 exec, exec, s[8:9]
.LBB6_627:                              ;   in Loop: Header=BB6_620 Depth=1
	s_or_b64 exec, exec, s[6:7]
	v_cmp_ne_u32_e64 s[4:5], v13, v42
	s_mov_b64 s[8:9], -1
                                        ; implicit-def: $sgpr6_sgpr7
	s_and_saveexec_b64 s[24:25], s[4:5]
	s_cbranch_execz .LBB6_665
; %bb.628:                              ;   in Loop: Header=BB6_620 Depth=1
	v_not_b32_e32 v7, v7
	v_and_b32_e32 v14, v4, v7
	v_mov_b32_e32 v7, 0
	s_and_saveexec_b64 s[30:31], vcc
	s_cbranch_execz .LBB6_642
; %bb.629:                              ;   in Loop: Header=BB6_620 Depth=1
	s_mov_b32 s14, 0
	v_cmp_lt_i32_e64 s[4:5], 0, v44
	s_mov_b64 s[68:69], 0
	s_branch .LBB6_631
.LBB6_630:                              ;   in Loop: Header=BB6_631 Depth=2
	s_or_b64 exec, exec, s[10:11]
	s_and_b64 s[6:7], exec, s[70:71]
	s_or_b64 s[68:69], s[6:7], s[68:69]
	s_andn2_b64 exec, exec, s[68:69]
	s_cbranch_execz .LBB6_641
.LBB6_631:                              ;   Parent Loop BB6_620 Depth=1
                                        ; =>  This Loop Header: Depth=2
                                        ;       Child Loop BB6_635 Depth 3
	v_cmp_ne_u32_e64 s[6:7], s14, v13
	s_mov_b64 s[70:71], -1
	s_mov_b64 s[8:9], -1
	s_and_saveexec_b64 s[72:73], s[6:7]
	s_cbranch_execz .LBB6_639
; %bb.632:                              ;   in Loop: Header=BB6_631 Depth=2
	v_mov_b32_e32 v16, 0
	s_and_saveexec_b64 s[74:75], s[4:5]
	s_cbranch_execz .LBB6_638
; %bb.633:                              ;   in Loop: Header=BB6_631 Depth=2
	s_lshl_b64 s[6:7], s[14:15], 2
	v_mov_b32_e32 v7, s7
	v_add_co_u32_e64 v10, s[6:7], s6, v0
	v_addc_co_u32_e64 v11, s[6:7], v1, v7, s[6:7]
	flat_load_dword v7, v[10:11]
	s_mov_b32 s21, 0
	s_mov_b64 s[66:67], 0
	v_pk_mov_b32 v[10:11], v[58:59], v[58:59] op_sel:[0,1]
                                        ; implicit-def: $sgpr76_sgpr77
	s_waitcnt vmcnt(0) lgkmcnt(0)
	v_not_b32_e32 v15, v7
	s_branch .LBB6_635
.LBB6_634:                              ;   in Loop: Header=BB6_635 Depth=3
	s_or_b64 exec, exec, s[8:9]
	s_and_b64 s[6:7], exec, s[76:77]
	s_or_b64 s[66:67], s[6:7], s[66:67]
	s_andn2_b64 exec, exec, s[66:67]
	s_cbranch_execz .LBB6_637
.LBB6_635:                              ;   Parent Loop BB6_620 Depth=1
                                        ;     Parent Loop BB6_631 Depth=2
                                        ; =>    This Inner Loop Header: Depth=3
	flat_load_dword v12, v[10:11]
	v_mov_b32_e32 v16, s21
	s_or_b64 s[76:77], s[76:77], exec
	s_waitcnt vmcnt(0) lgkmcnt(0)
	v_and_b32_e32 v17, v12, v7
	v_and_b32_e32 v18, v12, v15
	v_cmp_ne_u32_e64 s[8:9], v17, v7
	v_cmp_ne_u32_e64 s[10:11], v14, v18
	v_cmp_gt_i32_e64 s[6:7], 0, v12
	s_or_b64 s[8:9], s[8:9], s[10:11]
	s_or_b64 s[6:7], s[8:9], s[6:7]
	s_and_saveexec_b64 s[8:9], s[6:7]
	s_cbranch_execz .LBB6_634
; %bb.636:                              ;   in Loop: Header=BB6_635 Depth=3
	v_add_co_u32_e64 v10, s[6:7], 4, v10
	s_add_i32 s21, s21, 1
	v_addc_co_u32_e64 v11, s[6:7], 0, v11, s[6:7]
	v_cmp_eq_u32_e64 s[6:7], s21, v44
	s_andn2_b64 s[10:11], s[76:77], exec
	s_and_b64 s[6:7], s[6:7], exec
	s_or_b64 s[76:77], s[10:11], s[6:7]
	v_mov_b32_e32 v16, v44
	s_branch .LBB6_634
.LBB6_637:                              ;   in Loop: Header=BB6_631 Depth=2
	s_or_b64 exec, exec, s[66:67]
.LBB6_638:                              ;   in Loop: Header=BB6_631 Depth=2
	s_or_b64 exec, exec, s[74:75]
	v_cmp_ne_u32_e64 s[6:7], v16, v44
	s_orn2_b64 s[8:9], s[6:7], exec
.LBB6_639:                              ;   in Loop: Header=BB6_631 Depth=2
	s_or_b64 exec, exec, s[72:73]
	v_mov_b32_e32 v7, s14
	s_and_saveexec_b64 s[10:11], s[8:9]
	s_cbranch_execz .LBB6_630
; %bb.640:                              ;   in Loop: Header=BB6_631 Depth=2
	s_add_i32 s14, s14, 1
	v_cmp_eq_u32_e64 s[6:7], s14, v42
	s_orn2_b64 s[70:71], s[6:7], exec
	v_mov_b32_e32 v7, v42
	s_branch .LBB6_630
.LBB6_641:                              ;   in Loop: Header=BB6_620 Depth=1
	s_or_b64 exec, exec, s[68:69]
.LBB6_642:                              ;   in Loop: Header=BB6_620 Depth=1
	s_or_b64 exec, exec, s[30:31]
	v_cmp_ne_u32_e64 s[4:5], v7, v42
	v_cmp_eq_u32_e64 s[6:7], v7, v42
                                        ; implicit-def: $sgpr8_sgpr9
	s_and_saveexec_b64 s[30:31], s[6:7]
	s_cbranch_execz .LBB6_664
; %bb.643:                              ;   in Loop: Header=BB6_620 Depth=1
	v_ashrrev_i32_e32 v7, 31, v6
	v_add_u32_e32 v10, 1, v6
	v_lshlrev_b64 v[6:7], 2, v[6:7]
	v_add_co_u32_e64 v6, s[6:7], v54, v6
	v_addc_co_u32_e64 v7, s[6:7], v55, v7, s[6:7]
	v_or_b32_e32 v4, 0x80000000, v4
	s_mov_b64 s[6:7], -1
	flat_store_dword v[6:7], v14
	flat_store_dword v[8:9], v4
                                        ; implicit-def: $sgpr8_sgpr9
	s_and_saveexec_b64 s[68:69], vcc
	s_cbranch_execz .LBB6_663
; %bb.644:                              ;   in Loop: Header=BB6_620 Depth=1
	s_mov_b32 s14, 0
	s_mov_b64 s[70:71], 0
                                        ; implicit-def: $sgpr74_sgpr75
                                        ; implicit-def: $sgpr72_sgpr73
	s_branch .LBB6_646
.LBB6_645:                              ;   in Loop: Header=BB6_646 Depth=2
	s_or_b64 exec, exec, s[80:81]
	s_xor_b64 s[6:7], s[10:11], -1
	s_and_b64 s[10:11], exec, s[76:77]
	s_or_b64 s[70:71], s[10:11], s[70:71]
	s_andn2_b64 s[10:11], s[72:73], exec
	s_and_b64 s[6:7], s[6:7], exec
	s_or_b64 s[72:73], s[10:11], s[6:7]
	s_andn2_b64 s[6:7], s[74:75], exec
	s_and_b64 s[8:9], s[8:9], exec
	s_or_b64 s[74:75], s[6:7], s[8:9]
	s_andn2_b64 exec, exec, s[70:71]
	s_cbranch_execz .LBB6_662
.LBB6_646:                              ;   Parent Loop BB6_620 Depth=1
                                        ; =>  This Loop Header: Depth=2
                                        ;       Child Loop BB6_652 Depth 3
	v_cmp_ne_u32_e64 s[6:7], s14, v13
	s_mov_b64 s[76:77], -1
	s_mov_b64 s[66:67], -1
                                        ; implicit-def: $sgpr8_sgpr9
	s_and_saveexec_b64 s[80:81], s[6:7]
	s_cbranch_execz .LBB6_660
; %bb.647:                              ;   in Loop: Header=BB6_646 Depth=2
	flat_load_dword v8, v[24:25] offset:4
	s_mov_b64 s[82:83], 0
	v_mov_b32_e32 v4, 0
	s_mov_b64 s[8:9], 0
	s_waitcnt vmcnt(0) lgkmcnt(0)
	v_cmp_lt_i32_e64 s[6:7], 0, v8
	s_and_saveexec_b64 s[84:85], s[6:7]
	s_cbranch_execz .LBB6_657
; %bb.648:                              ;   in Loop: Header=BB6_646 Depth=2
	s_lshl_b64 s[6:7], s[14:15], 2
	v_mov_b32_e32 v4, s7
	v_add_co_u32_e64 v6, s[6:7], s6, v0
	v_addc_co_u32_e64 v7, s[6:7], v1, v4, s[6:7]
	flat_load_dword v12, v[58:59]
	flat_load_dword v9, v[6:7]
	s_waitcnt vmcnt(0) lgkmcnt(0)
	v_cmp_gt_i32_e64 s[6:7], 0, v12
	v_not_b32_e32 v11, v9
	v_and_b32_e32 v4, v12, v9
	v_cmp_ne_u32_e64 s[8:9], v4, v9
	v_and_b32_e32 v4, v12, v11
	v_cmp_ne_u32_e64 s[10:11], v14, v4
	s_or_b64 s[8:9], s[8:9], s[10:11]
	s_or_b64 s[6:7], s[8:9], s[6:7]
	v_mov_b32_e32 v4, 0
	s_and_saveexec_b64 s[86:87], s[6:7]
	s_cbranch_execz .LBB6_656
; %bb.649:                              ;   in Loop: Header=BB6_646 Depth=2
	s_mov_b32 s21, 1
	v_cmp_ne_u32_e64 s[6:7], 1, v8
	v_mov_b32_e32 v4, 1
	s_and_saveexec_b64 s[66:67], s[6:7]
	s_cbranch_execz .LBB6_655
; %bb.650:                              ;   in Loop: Header=BB6_646 Depth=2
	s_mov_b64 s[90:91], 0
	v_pk_mov_b32 v[6:7], v[2:3], v[2:3] op_sel:[0,1]
                                        ; implicit-def: $sgpr92_sgpr93
	s_branch .LBB6_652
.LBB6_651:                              ;   in Loop: Header=BB6_652 Depth=3
	s_or_b64 exec, exec, s[8:9]
	s_and_b64 s[6:7], exec, s[92:93]
	s_or_b64 s[90:91], s[6:7], s[90:91]
	s_andn2_b64 exec, exec, s[90:91]
	s_cbranch_execz .LBB6_654
.LBB6_652:                              ;   Parent Loop BB6_620 Depth=1
                                        ;     Parent Loop BB6_646 Depth=2
                                        ; =>    This Inner Loop Header: Depth=3
	flat_load_dword v12, v[6:7]
	v_mov_b32_e32 v4, s21
	s_or_b64 s[92:93], s[92:93], exec
	s_waitcnt vmcnt(0) lgkmcnt(0)
	v_and_b32_e32 v15, v12, v9
	v_and_b32_e32 v16, v12, v11
	v_cmp_ne_u32_e64 s[8:9], v15, v9
	v_cmp_ne_u32_e64 s[10:11], v14, v16
	v_cmp_gt_i32_e64 s[6:7], 0, v12
	s_or_b64 s[8:9], s[8:9], s[10:11]
	s_or_b64 s[6:7], s[8:9], s[6:7]
	s_and_saveexec_b64 s[8:9], s[6:7]
	s_cbranch_execz .LBB6_651
; %bb.653:                              ;   in Loop: Header=BB6_652 Depth=3
	v_add_co_u32_e64 v6, s[6:7], 4, v6
	s_add_i32 s21, s21, 1
	v_addc_co_u32_e64 v7, s[6:7], 0, v7, s[6:7]
	v_cmp_eq_u32_e64 s[6:7], s21, v8
	s_andn2_b64 s[10:11], s[92:93], exec
	s_and_b64 s[6:7], s[6:7], exec
	s_or_b64 s[92:93], s[10:11], s[6:7]
	v_mov_b32_e32 v4, v8
	s_branch .LBB6_651
.LBB6_654:                              ;   in Loop: Header=BB6_646 Depth=2
	s_or_b64 exec, exec, s[90:91]
.LBB6_655:                              ;   in Loop: Header=BB6_646 Depth=2
	s_or_b64 exec, exec, s[66:67]
	v_cmp_lt_i32_e64 s[6:7], v4, v8
	s_orn2_b64 s[66:67], s[6:7], exec
.LBB6_656:                              ;   in Loop: Header=BB6_646 Depth=2
	s_or_b64 exec, exec, s[86:87]
	s_and_b64 s[8:9], s[66:67], exec
.LBB6_657:                              ;   in Loop: Header=BB6_646 Depth=2
	s_or_b64 exec, exec, s[84:85]
	s_and_saveexec_b64 s[10:11], s[8:9]
	s_cbranch_execz .LBB6_659
; %bb.658:                              ;   in Loop: Header=BB6_646 Depth=2
	v_lshlrev_b64 v[6:7], 2, v[4:5]
	v_add_co_u32_e64 v6, s[6:7], v58, v6
	s_mov_b64 s[82:83], exec
	v_or_b32_e32 v8, 0x80000000, v12
	v_addc_co_u32_e64 v7, s[6:7], v59, v7, s[6:7]
	flat_store_dword v[6:7], v8
.LBB6_659:                              ;   in Loop: Header=BB6_646 Depth=2
	s_or_b64 exec, exec, s[10:11]
	s_mov_b64 s[8:9], -1
	s_orn2_b64 s[66:67], s[82:83], exec
.LBB6_660:                              ;   in Loop: Header=BB6_646 Depth=2
	s_or_b64 exec, exec, s[80:81]
	s_mov_b64 s[10:11], s[8:9]
	s_and_saveexec_b64 s[80:81], s[66:67]
	s_cbranch_execz .LBB6_645
; %bb.661:                              ;   in Loop: Header=BB6_646 Depth=2
	s_add_i32 s14, s14, 1
	v_cmp_eq_u32_e64 s[6:7], s14, v42
	s_andn2_b64 s[10:11], s[8:9], exec
	s_orn2_b64 s[76:77], s[6:7], exec
	s_branch .LBB6_645
.LBB6_662:                              ;   in Loop: Header=BB6_620 Depth=1
	s_or_b64 exec, exec, s[70:71]
	s_and_b64 s[8:9], s[74:75], exec
	s_orn2_b64 s[6:7], s[72:73], exec
.LBB6_663:                              ;   in Loop: Header=BB6_620 Depth=1
	s_or_b64 exec, exec, s[68:69]
	s_andn2_b64 s[4:5], s[4:5], exec
	s_and_b64 s[6:7], s[6:7], exec
	s_and_b64 s[8:9], s[8:9], exec
	s_or_b64 s[4:5], s[4:5], s[6:7]
	v_mov_b32_e32 v6, v10
.LBB6_664:                              ;   in Loop: Header=BB6_620 Depth=1
	s_or_b64 exec, exec, s[30:31]
	s_and_b64 s[6:7], s[8:9], exec
	s_orn2_b64 s[8:9], s[4:5], exec
.LBB6_665:                              ;   in Loop: Header=BB6_620 Depth=1
	s_or_b64 exec, exec, s[24:25]
	s_and_b64 s[6:7], s[6:7], exec
	s_orn2_b64 s[8:9], s[8:9], exec
.LBB6_666:                              ;   in Loop: Header=BB6_620 Depth=1
	s_or_b64 exec, exec, s[22:23]
	s_mov_b64 s[4:5], -1
                                        ; implicit-def: $vgpr44
	s_and_saveexec_b64 s[10:11], s[8:9]
	s_cbranch_execz .LBB6_619
; %bb.667:                              ;   in Loop: Header=BB6_620 Depth=1
	flat_load_dword v44, v[24:25] offset:4
	s_add_i32 s20, s20, 1
	s_andn2_b64 s[6:7], s[6:7], exec
	s_waitcnt vmcnt(0) lgkmcnt(0)
	v_cmp_ge_i32_e64 s[4:5], s20, v44
	s_orn2_b64 s[4:5], s[4:5], exec
	s_branch .LBB6_619
.LBB6_668:
	s_or_b64 exec, exec, s[18:19]
	s_mov_b64 s[4:5], 0
	s_mov_b64 s[6:7], -1
	v_mov_b32_e32 v57, 0
	s_and_saveexec_b64 s[8:9], s[16:17]
	s_xor_b64 s[8:9], exec, s[8:9]
	s_cbranch_execz .LBB6_670
; %bb.669:
	s_mov_b64 s[4:5], exec
	s_xor_b64 s[6:7], exec, -1
	v_mov_b32_e32 v57, v6
	buffer_store_dword v6, off, s[0:3], s33 offset:148
.LBB6_670:
	s_or_b64 exec, exec, s[8:9]
	s_and_b64 s[72:73], s[6:7], exec
	s_orn2_b64 s[4:5], s[4:5], exec
.LBB6_671:
	s_or_b64 exec, exec, s[12:13]
	s_mov_b64 s[66:67], s[26:27]
                                        ; implicit-def: $vgpr40
	s_and_saveexec_b64 s[74:75], s[4:5]
	s_cbranch_execz .LBB6_792
; %bb.672:
	v_mul_lo_u32 v60, v57, v42
	v_sub_u32_e32 v42, v44, v60
	v_mov_b32_e32 v0, 0
	v_cmp_lt_i32_e32 vcc, 0, v42
	s_mov_b64 s[4:5], -1
	v_pk_mov_b32 v[46:47], 0, 0
	s_mov_b64 s[70:71], s[26:27]
	buffer_store_dword v0, off, s[0:3], s33 offset:180
	s_and_saveexec_b64 s[44:45], vcc
	s_cbranch_execz .LBB6_1278
; %bb.673:
	flat_load_dword v0, v[22:23]
	s_movk_i32 s4, 0x2001
	s_mov_b64 s[68:69], 0
	v_pk_mov_b32 v[46:47], 0, 0
	s_waitcnt vmcnt(0) lgkmcnt(0)
	v_add_u32_e32 v0, v0, v42
	v_cmp_gt_i32_e32 vcc, s4, v0
	s_and_saveexec_b64 s[4:5], vcc
	s_xor_b64 s[4:5], exec, s[4:5]
	s_cbranch_execz .LBB6_675
; %bb.674:
	v_ashrrev_i32_e32 v1, 31, v0
	flat_store_dword v[22:23], v0
	v_lshlrev_b64 v[0:1], 2, v[0:1]
	v_add_co_u32_e32 v2, vcc, v22, v0
	v_mov_b32_e32 v43, 0
	v_addc_co_u32_e32 v3, vcc, v23, v1, vcc
	v_lshlrev_b64 v[0:1], 2, v[42:43]
	v_sub_co_u32_e32 v0, vcc, v2, v0
	v_subb_co_u32_e32 v1, vcc, v3, v1, vcc
	v_add_co_u32_e32 v46, vcc, 4, v0
	s_mov_b64 s[68:69], exec
	v_addc_co_u32_e32 v47, vcc, 0, v1, vcc
.LBB6_675:
	s_or_saveexec_b64 s[70:71], s[4:5]
	s_mov_b64 s[4:5], s[26:27]
	s_xor_b64 exec, exec, s[70:71]
	s_cbranch_execz .LBB6_1277
; %bb.676:
	s_load_dwordx2 s[6:7], s[48:49], 0x50
	v_mbcnt_lo_u32_b32 v0, -1, 0
	v_mbcnt_hi_u32_b32 v30, -1, v0
	v_accvgpr_write_b32 a4, v24
	v_accvgpr_write_b32 a2, v22
	;; [unrolled: 1-line block ×3, first 2 shown]
	v_readfirstlane_b32 s4, v30
	v_accvgpr_write_b32 a5, v25
	v_accvgpr_write_b32 a3, v23
	;; [unrolled: 1-line block ×3, first 2 shown]
	v_cmp_eq_u32_e64 s[4:5], s4, v30
	v_pk_mov_b32 v[6:7], 0, 0
	s_and_saveexec_b64 s[8:9], s[4:5]
	s_cbranch_execz .LBB6_682
; %bb.677:
	v_mov_b32_e32 v0, 0
	s_waitcnt lgkmcnt(0)
	global_load_dwordx2 v[4:5], v0, s[6:7] offset:24 glc
	s_waitcnt vmcnt(0)
	buffer_invl2
	buffer_wbinvl1_vol
	global_load_dwordx2 v[2:3], v0, s[6:7] offset:40
	global_load_dwordx2 v[6:7], v0, s[6:7]
	s_waitcnt vmcnt(1)
	v_and_b32_e32 v1, v2, v4
	v_and_b32_e32 v2, v3, v5
	v_mul_lo_u32 v2, v2, 24
	v_mul_hi_u32 v3, v1, 24
	v_mul_lo_u32 v1, v1, 24
	v_add_u32_e32 v3, v3, v2
	s_waitcnt vmcnt(0)
	v_add_co_u32_e32 v2, vcc, v6, v1
	v_addc_co_u32_e32 v3, vcc, v7, v3, vcc
	global_load_dwordx2 v[2:3], v[2:3], off glc
	s_waitcnt vmcnt(0)
	global_atomic_cmpswap_x2 v[6:7], v0, v[2:5], s[6:7] offset:24 glc
	s_waitcnt vmcnt(0)
	buffer_invl2
	buffer_wbinvl1_vol
	v_cmp_ne_u64_e32 vcc, v[6:7], v[4:5]
	s_and_saveexec_b64 s[10:11], vcc
	s_cbranch_execz .LBB6_681
; %bb.678:
	s_mov_b64 s[12:13], s[42:43]
	s_mov_b64 s[14:15], s[40:41]
	s_mov_b64 s[16:17], 0
.LBB6_679:                              ; =>This Inner Loop Header: Depth=1
	s_sleep 1
	global_load_dwordx2 v[2:3], v0, s[6:7] offset:40
	global_load_dwordx2 v[8:9], v0, s[6:7]
	v_pk_mov_b32 v[4:5], v[6:7], v[6:7] op_sel:[0,1]
	s_waitcnt vmcnt(1)
	v_and_b32_e32 v2, v2, v4
	v_and_b32_e32 v1, v3, v5
	s_waitcnt vmcnt(0)
	v_mad_u64_u32 v[2:3], s[18:19], v2, 24, v[8:9]
	v_mov_b32_e32 v6, v3
	v_mad_u64_u32 v[6:7], s[18:19], v1, 24, v[6:7]
	v_mov_b32_e32 v3, v6
	global_load_dwordx2 v[2:3], v[2:3], off glc
	s_waitcnt vmcnt(0)
	global_atomic_cmpswap_x2 v[6:7], v0, v[2:5], s[6:7] offset:24 glc
	s_waitcnt vmcnt(0)
	buffer_invl2
	buffer_wbinvl1_vol
	v_cmp_eq_u64_e32 vcc, v[6:7], v[4:5]
	s_or_b64 s[16:17], vcc, s[16:17]
	s_andn2_b64 exec, exec, s[16:17]
	s_cbranch_execnz .LBB6_679
; %bb.680:
	s_or_b64 exec, exec, s[16:17]
	s_mov_b64 s[38:39], 0
	s_mov_b64 s[40:41], s[14:15]
	s_mov_b64 s[42:43], s[12:13]
.LBB6_681:
	s_or_b64 exec, exec, s[10:11]
.LBB6_682:
	s_or_b64 exec, exec, s[8:9]
	v_mov_b32_e32 v5, 0
	s_waitcnt lgkmcnt(0)
	global_load_dwordx2 v[8:9], v5, s[6:7] offset:40
	global_load_dwordx4 v[0:3], v5, s[6:7]
	v_readfirstlane_b32 s8, v6
	v_readfirstlane_b32 s9, v7
	s_mov_b64 s[10:11], exec
	s_waitcnt vmcnt(0)
	v_readfirstlane_b32 s12, v8
	v_readfirstlane_b32 s13, v9
	s_and_b64 s[12:13], s[8:9], s[12:13]
	s_mul_i32 s14, s13, 24
	s_mul_hi_u32 s15, s12, 24
	s_mul_i32 s16, s12, 24
	s_add_i32 s14, s15, s14
	v_mov_b32_e32 v4, s14
	v_add_co_u32_e32 v8, vcc, s16, v0
	v_addc_co_u32_e32 v9, vcc, v1, v4, vcc
	s_and_saveexec_b64 s[14:15], s[4:5]
	s_cbranch_execz .LBB6_684
; %bb.683:
	v_pk_mov_b32 v[10:11], s[10:11], s[10:11] op_sel:[0,1]
	v_mov_b32_e32 v12, 2
	v_mov_b32_e32 v13, 1
	global_store_dwordx4 v[8:9], v[10:13], off offset:8
.LBB6_684:
	s_or_b64 exec, exec, s[14:15]
	s_lshl_b64 s[10:11], s[12:13], 12
	v_mov_b32_e32 v4, s11
	v_add_co_u32_e32 v2, vcc, s10, v2
	v_addc_co_u32_e32 v3, vcc, v3, v4, vcc
	s_mov_b32 s12, 0
	v_lshlrev_b32_e32 v31, 6, v30
	v_add_co_u32_e32 v10, vcc, v2, v31
	v_mov_b32_e32 v4, 33
	v_mov_b32_e32 v6, v5
	;; [unrolled: 1-line block ×3, first 2 shown]
	v_readfirstlane_b32 s10, v2
	v_readfirstlane_b32 s11, v3
	s_mov_b32 s13, s12
	v_addc_co_u32_e32 v11, vcc, 0, v3, vcc
	s_mov_b32 s14, s12
	s_mov_b32 s15, s12
	s_nop 0
	global_store_dwordx4 v31, v[4:7], s[10:11]
	v_pk_mov_b32 v[2:3], s[12:13], s[12:13] op_sel:[0,1]
	v_pk_mov_b32 v[4:5], s[14:15], s[14:15] op_sel:[0,1]
	global_store_dwordx4 v31, v[2:5], s[10:11] offset:16
	global_store_dwordx4 v31, v[2:5], s[10:11] offset:32
	;; [unrolled: 1-line block ×3, first 2 shown]
	s_and_saveexec_b64 s[10:11], s[4:5]
	s_cbranch_execz .LBB6_692
; %bb.685:
	v_mov_b32_e32 v6, 0
	global_load_dwordx2 v[14:15], v6, s[6:7] offset:32 glc
	global_load_dwordx2 v[2:3], v6, s[6:7] offset:40
	v_mov_b32_e32 v12, s8
	v_mov_b32_e32 v13, s9
	s_mov_b64 s[12:13], s[42:43]
	s_mov_b64 s[14:15], s[40:41]
	s_waitcnt vmcnt(0)
	v_and_b32_e32 v2, s8, v2
	v_and_b32_e32 v3, s9, v3
	v_mul_lo_u32 v3, v3, 24
	v_mul_hi_u32 v4, v2, 24
	v_mul_lo_u32 v2, v2, 24
	v_add_u32_e32 v3, v4, v3
	v_add_co_u32_e32 v4, vcc, v0, v2
	v_addc_co_u32_e32 v5, vcc, v1, v3, vcc
	global_store_dwordx2 v[4:5], v[14:15], off
	buffer_wbl2
	s_waitcnt vmcnt(0)
	global_atomic_cmpswap_x2 v[2:3], v6, v[12:15], s[6:7] offset:32 glc
	s_waitcnt vmcnt(0)
	v_cmp_ne_u64_e32 vcc, v[2:3], v[14:15]
	s_and_saveexec_b64 s[16:17], vcc
	s_cbranch_execz .LBB6_688
; %bb.686:
	s_mov_b64 s[18:19], 0
.LBB6_687:                              ; =>This Inner Loop Header: Depth=1
	s_sleep 1
	global_store_dwordx2 v[4:5], v[2:3], off
	v_mov_b32_e32 v0, s8
	v_mov_b32_e32 v1, s9
	buffer_wbl2
	s_waitcnt vmcnt(0)
	global_atomic_cmpswap_x2 v[0:1], v6, v[0:3], s[6:7] offset:32 glc
	s_waitcnt vmcnt(0)
	v_cmp_eq_u64_e32 vcc, v[0:1], v[2:3]
	s_or_b64 s[18:19], vcc, s[18:19]
	v_pk_mov_b32 v[2:3], v[0:1], v[0:1] op_sel:[0,1]
	s_andn2_b64 exec, exec, s[18:19]
	s_cbranch_execnz .LBB6_687
.LBB6_688:
	s_or_b64 exec, exec, s[16:17]
	v_mov_b32_e32 v3, 0
	global_load_dwordx2 v[0:1], v3, s[6:7] offset:16
	s_mov_b64 s[16:17], exec
	v_mbcnt_lo_u32_b32 v2, s16, 0
	v_mbcnt_hi_u32_b32 v2, s17, v2
	v_cmp_eq_u32_e32 vcc, 0, v2
	s_and_saveexec_b64 s[18:19], vcc
	s_cbranch_execz .LBB6_690
; %bb.689:
	s_bcnt1_i32_b64 s16, s[16:17]
	v_mov_b32_e32 v2, s16
	buffer_wbl2
	s_waitcnt vmcnt(0)
	global_atomic_add_x2 v[0:1], v[2:3], off offset:8
.LBB6_690:
	s_or_b64 exec, exec, s[18:19]
	s_waitcnt vmcnt(0)
	global_load_dwordx2 v[2:3], v[0:1], off offset:16
	s_mov_b64 s[38:39], 0
	s_mov_b64 s[40:41], s[14:15]
	;; [unrolled: 1-line block ×3, first 2 shown]
	s_waitcnt vmcnt(0)
	v_cmp_eq_u64_e32 vcc, 0, v[2:3]
	s_cbranch_vccnz .LBB6_692
; %bb.691:
	global_load_dword v0, v[0:1], off offset:24
	v_mov_b32_e32 v1, 0
	buffer_wbl2
	s_waitcnt vmcnt(0)
	global_store_dwordx2 v[2:3], v[0:1], off
	v_and_b32_e32 v0, 0xffffff, v0
	v_readfirstlane_b32 m0, v0
	s_sendmsg sendmsg(MSG_INTERRUPT)
.LBB6_692:
	s_or_b64 exec, exec, s[10:11]
	s_branch .LBB6_694
.LBB6_693:
	s_branch .LBB6_698
.LBB6_694:                              ; =>This Inner Loop Header: Depth=1
	v_mov_b32_e32 v0, 1
	s_and_saveexec_b64 s[10:11], s[4:5]
	s_cbranch_execz .LBB6_696
; %bb.695:                              ;   in Loop: Header=BB6_694 Depth=1
	global_load_dword v0, v[8:9], off offset:20 glc
	s_waitcnt vmcnt(0)
	buffer_invl2
	buffer_wbinvl1_vol
	v_and_b32_e32 v0, 1, v0
.LBB6_696:                              ;   in Loop: Header=BB6_694 Depth=1
	s_or_b64 exec, exec, s[10:11]
	v_readfirstlane_b32 s10, v0
	s_cmp_eq_u32 s10, 0
	s_cbranch_scc1 .LBB6_693
; %bb.697:                              ;   in Loop: Header=BB6_694 Depth=1
	s_sleep 1
	s_cbranch_execnz .LBB6_694
.LBB6_698:
	global_load_dwordx2 v[0:1], v[10:11], off
	s_and_saveexec_b64 s[10:11], s[4:5]
	s_cbranch_execz .LBB6_701
; %bb.699:
	v_mov_b32_e32 v8, 0
	global_load_dwordx2 v[6:7], v8, s[6:7] offset:40
	global_load_dwordx2 v[10:11], v8, s[6:7] offset:24 glc
	global_load_dwordx2 v[12:13], v8, s[6:7]
	v_mov_b32_e32 v3, s9
	s_mov_b64 s[4:5], 0
	s_waitcnt vmcnt(2)
	v_add_co_u32_e32 v5, vcc, 1, v6
	v_addc_co_u32_e32 v9, vcc, 0, v7, vcc
	v_add_co_u32_e32 v2, vcc, s8, v5
	v_addc_co_u32_e32 v3, vcc, v9, v3, vcc
	v_cmp_eq_u64_e32 vcc, 0, v[2:3]
	v_cndmask_b32_e32 v3, v3, v9, vcc
	v_cndmask_b32_e32 v2, v2, v5, vcc
	v_and_b32_e32 v5, v3, v7
	v_and_b32_e32 v6, v2, v6
	v_mul_lo_u32 v5, v5, 24
	v_mul_hi_u32 v7, v6, 24
	v_mul_lo_u32 v6, v6, 24
	v_add_u32_e32 v5, v7, v5
	s_waitcnt vmcnt(0)
	v_add_co_u32_e32 v6, vcc, v12, v6
	v_addc_co_u32_e32 v7, vcc, v13, v5, vcc
	v_mov_b32_e32 v4, v10
	global_store_dwordx2 v[6:7], v[10:11], off
	v_mov_b32_e32 v5, v11
	buffer_wbl2
	s_waitcnt vmcnt(0)
	global_atomic_cmpswap_x2 v[4:5], v8, v[2:5], s[6:7] offset:24 glc
	s_waitcnt vmcnt(0)
	v_cmp_ne_u64_e32 vcc, v[4:5], v[10:11]
	s_and_b64 exec, exec, vcc
	s_cbranch_execz .LBB6_701
.LBB6_700:                              ; =>This Inner Loop Header: Depth=1
	s_sleep 1
	global_store_dwordx2 v[6:7], v[4:5], off
	buffer_wbl2
	s_waitcnt vmcnt(0)
	global_atomic_cmpswap_x2 v[10:11], v8, v[2:5], s[6:7] offset:24 glc
	s_waitcnt vmcnt(0)
	v_cmp_eq_u64_e32 vcc, v[10:11], v[4:5]
	s_or_b64 s[4:5], vcc, s[4:5]
	v_pk_mov_b32 v[4:5], v[10:11], v[10:11] op_sel:[0,1]
	s_andn2_b64 exec, exec, s[4:5]
	s_cbranch_execnz .LBB6_700
.LBB6_701:
	s_or_b64 exec, exec, s[10:11]
	s_getpc_b64 s[8:9]
	s_add_u32 s8, s8, .str.28@rel32@lo+4
	s_addc_u32 s9, s9, .str.28@rel32@hi+12
	s_cmp_lg_u64 s[8:9], 0
	s_cbranch_scc0 .LBB6_1248
; %bb.702:
	s_waitcnt vmcnt(0)
	v_and_b32_e32 v6, -3, v0
	v_mov_b32_e32 v7, v1
	s_mov_b64 s[10:11], 35
	v_mov_b32_e32 v27, 0
	v_mov_b32_e32 v4, 2
	;; [unrolled: 1-line block ×3, first 2 shown]
	s_branch .LBB6_704
.LBB6_703:                              ;   in Loop: Header=BB6_704 Depth=1
	s_or_b64 exec, exec, s[16:17]
	s_sub_u32 s10, s10, s12
	s_subb_u32 s11, s11, s13
	s_add_u32 s8, s8, s12
	s_addc_u32 s9, s9, s13
	s_cmp_lg_u64 s[10:11], 0
	s_cbranch_scc0 .LBB6_1247
.LBB6_704:                              ; =>This Loop Header: Depth=1
                                        ;     Child Loop BB6_707 Depth 2
                                        ;     Child Loop BB6_715 Depth 2
	;; [unrolled: 1-line block ×11, first 2 shown]
	v_cmp_lt_u64_e64 s[4:5], s[10:11], 56
	s_and_b64 s[4:5], s[4:5], exec
	v_cmp_gt_u64_e64 s[4:5], s[10:11], 7
	s_cselect_b32 s13, s11, 0
	s_cselect_b32 s12, s10, 56
	s_and_b64 vcc, exec, s[4:5]
	s_cbranch_vccnz .LBB6_709
; %bb.705:                              ;   in Loop: Header=BB6_704 Depth=1
	s_mov_b64 s[4:5], 0
	s_cmp_eq_u64 s[10:11], 0
	s_waitcnt vmcnt(0)
	v_pk_mov_b32 v[8:9], 0, 0
	s_cbranch_scc1 .LBB6_708
; %bb.706:                              ;   in Loop: Header=BB6_704 Depth=1
	s_lshl_b64 s[14:15], s[12:13], 3
	s_mov_b64 s[16:17], 0
	v_pk_mov_b32 v[8:9], 0, 0
	s_mov_b64 s[18:19], s[8:9]
.LBB6_707:                              ;   Parent Loop BB6_704 Depth=1
                                        ; =>  This Inner Loop Header: Depth=2
	global_load_ubyte v2, v27, s[18:19]
	s_waitcnt vmcnt(0)
	v_and_b32_e32 v26, 0xffff, v2
	v_lshlrev_b64 v[2:3], s16, v[26:27]
	s_add_u32 s16, s16, 8
	s_addc_u32 s17, s17, 0
	s_add_u32 s18, s18, 1
	s_addc_u32 s19, s19, 0
	v_or_b32_e32 v8, v2, v8
	s_cmp_lg_u32 s14, s16
	v_or_b32_e32 v9, v3, v9
	s_cbranch_scc1 .LBB6_707
.LBB6_708:                              ;   in Loop: Header=BB6_704 Depth=1
	s_mov_b32 s18, 0
	s_branch .LBB6_710
.LBB6_709:                              ;   in Loop: Header=BB6_704 Depth=1
	s_mov_b64 s[4:5], -1
                                        ; implicit-def: $sgpr18
.LBB6_710:                              ;   in Loop: Header=BB6_704 Depth=1
	s_andn2_b64 vcc, exec, s[4:5]
	s_mov_b64 s[4:5], s[8:9]
	s_cbranch_vccnz .LBB6_712
; %bb.711:                              ;   in Loop: Header=BB6_704 Depth=1
	global_load_dwordx2 v[8:9], v27, s[8:9]
	s_add_i32 s18, s12, -8
	s_add_u32 s4, s8, 8
	s_addc_u32 s5, s9, 0
.LBB6_712:                              ;   in Loop: Header=BB6_704 Depth=1
	s_cmp_gt_u32 s18, 7
	s_cbranch_scc1 .LBB6_716
; %bb.713:                              ;   in Loop: Header=BB6_704 Depth=1
	s_cmp_eq_u32 s18, 0
	s_cbranch_scc1 .LBB6_717
; %bb.714:                              ;   in Loop: Header=BB6_704 Depth=1
	s_mov_b64 s[14:15], 0
	v_pk_mov_b32 v[10:11], 0, 0
	s_mov_b64 s[16:17], 0
.LBB6_715:                              ;   Parent Loop BB6_704 Depth=1
                                        ; =>  This Inner Loop Header: Depth=2
	s_add_u32 s20, s4, s16
	s_addc_u32 s21, s5, s17
	global_load_ubyte v2, v27, s[20:21]
	s_add_u32 s16, s16, 1
	s_addc_u32 s17, s17, 0
	s_waitcnt vmcnt(0)
	v_and_b32_e32 v26, 0xffff, v2
	v_lshlrev_b64 v[2:3], s14, v[26:27]
	s_add_u32 s14, s14, 8
	s_addc_u32 s15, s15, 0
	v_or_b32_e32 v10, v2, v10
	s_cmp_lg_u32 s18, s16
	v_or_b32_e32 v11, v3, v11
	s_cbranch_scc1 .LBB6_715
	s_branch .LBB6_718
.LBB6_716:                              ;   in Loop: Header=BB6_704 Depth=1
	s_mov_b64 s[14:15], -1
                                        ; implicit-def: $vgpr10_vgpr11
                                        ; implicit-def: $sgpr19
	s_branch .LBB6_719
.LBB6_717:                              ;   in Loop: Header=BB6_704 Depth=1
	v_pk_mov_b32 v[10:11], 0, 0
.LBB6_718:                              ;   in Loop: Header=BB6_704 Depth=1
	s_mov_b64 s[14:15], 0
	s_mov_b32 s19, 0
.LBB6_719:                              ;   in Loop: Header=BB6_704 Depth=1
	s_andn2_b64 vcc, exec, s[14:15]
	s_cbranch_vccnz .LBB6_721
; %bb.720:                              ;   in Loop: Header=BB6_704 Depth=1
	global_load_dwordx2 v[10:11], v27, s[4:5]
	s_add_i32 s19, s18, -8
	s_add_u32 s4, s4, 8
	s_addc_u32 s5, s5, 0
.LBB6_721:                              ;   in Loop: Header=BB6_704 Depth=1
	s_cmp_gt_u32 s19, 7
	s_cbranch_scc1 .LBB6_725
; %bb.722:                              ;   in Loop: Header=BB6_704 Depth=1
	s_cmp_eq_u32 s19, 0
	s_cbranch_scc1 .LBB6_726
; %bb.723:                              ;   in Loop: Header=BB6_704 Depth=1
	s_mov_b64 s[14:15], 0
	v_pk_mov_b32 v[12:13], 0, 0
	s_mov_b64 s[16:17], 0
.LBB6_724:                              ;   Parent Loop BB6_704 Depth=1
                                        ; =>  This Inner Loop Header: Depth=2
	s_add_u32 s20, s4, s16
	s_addc_u32 s21, s5, s17
	global_load_ubyte v2, v27, s[20:21]
	s_add_u32 s16, s16, 1
	s_addc_u32 s17, s17, 0
	s_waitcnt vmcnt(0)
	v_and_b32_e32 v26, 0xffff, v2
	v_lshlrev_b64 v[2:3], s14, v[26:27]
	s_add_u32 s14, s14, 8
	s_addc_u32 s15, s15, 0
	v_or_b32_e32 v12, v2, v12
	s_cmp_lg_u32 s19, s16
	v_or_b32_e32 v13, v3, v13
	s_cbranch_scc1 .LBB6_724
	s_branch .LBB6_727
.LBB6_725:                              ;   in Loop: Header=BB6_704 Depth=1
	s_mov_b64 s[14:15], -1
                                        ; implicit-def: $sgpr18
	s_branch .LBB6_728
.LBB6_726:                              ;   in Loop: Header=BB6_704 Depth=1
	v_pk_mov_b32 v[12:13], 0, 0
.LBB6_727:                              ;   in Loop: Header=BB6_704 Depth=1
	s_mov_b64 s[14:15], 0
	s_mov_b32 s18, 0
.LBB6_728:                              ;   in Loop: Header=BB6_704 Depth=1
	s_andn2_b64 vcc, exec, s[14:15]
	s_cbranch_vccnz .LBB6_730
; %bb.729:                              ;   in Loop: Header=BB6_704 Depth=1
	global_load_dwordx2 v[12:13], v27, s[4:5]
	s_add_i32 s18, s19, -8
	s_add_u32 s4, s4, 8
	s_addc_u32 s5, s5, 0
.LBB6_730:                              ;   in Loop: Header=BB6_704 Depth=1
	s_cmp_gt_u32 s18, 7
	s_cbranch_scc1 .LBB6_734
; %bb.731:                              ;   in Loop: Header=BB6_704 Depth=1
	s_cmp_eq_u32 s18, 0
	s_cbranch_scc1 .LBB6_735
; %bb.732:                              ;   in Loop: Header=BB6_704 Depth=1
	s_mov_b64 s[14:15], 0
	v_pk_mov_b32 v[14:15], 0, 0
	s_mov_b64 s[16:17], 0
.LBB6_733:                              ;   Parent Loop BB6_704 Depth=1
                                        ; =>  This Inner Loop Header: Depth=2
	s_add_u32 s20, s4, s16
	s_addc_u32 s21, s5, s17
	global_load_ubyte v2, v27, s[20:21]
	s_add_u32 s16, s16, 1
	s_addc_u32 s17, s17, 0
	s_waitcnt vmcnt(0)
	v_and_b32_e32 v26, 0xffff, v2
	v_lshlrev_b64 v[2:3], s14, v[26:27]
	s_add_u32 s14, s14, 8
	s_addc_u32 s15, s15, 0
	v_or_b32_e32 v14, v2, v14
	s_cmp_lg_u32 s18, s16
	v_or_b32_e32 v15, v3, v15
	s_cbranch_scc1 .LBB6_733
	s_branch .LBB6_736
.LBB6_734:                              ;   in Loop: Header=BB6_704 Depth=1
	s_mov_b64 s[14:15], -1
                                        ; implicit-def: $vgpr14_vgpr15
                                        ; implicit-def: $sgpr19
	s_branch .LBB6_737
.LBB6_735:                              ;   in Loop: Header=BB6_704 Depth=1
	v_pk_mov_b32 v[14:15], 0, 0
.LBB6_736:                              ;   in Loop: Header=BB6_704 Depth=1
	s_mov_b64 s[14:15], 0
	s_mov_b32 s19, 0
.LBB6_737:                              ;   in Loop: Header=BB6_704 Depth=1
	s_andn2_b64 vcc, exec, s[14:15]
	s_cbranch_vccnz .LBB6_739
; %bb.738:                              ;   in Loop: Header=BB6_704 Depth=1
	global_load_dwordx2 v[14:15], v27, s[4:5]
	s_add_i32 s19, s18, -8
	s_add_u32 s4, s4, 8
	s_addc_u32 s5, s5, 0
.LBB6_739:                              ;   in Loop: Header=BB6_704 Depth=1
	s_cmp_gt_u32 s19, 7
	s_cbranch_scc1 .LBB6_743
; %bb.740:                              ;   in Loop: Header=BB6_704 Depth=1
	s_cmp_eq_u32 s19, 0
	s_cbranch_scc1 .LBB6_744
; %bb.741:                              ;   in Loop: Header=BB6_704 Depth=1
	s_mov_b64 s[14:15], 0
	v_pk_mov_b32 v[16:17], 0, 0
	s_mov_b64 s[16:17], 0
.LBB6_742:                              ;   Parent Loop BB6_704 Depth=1
                                        ; =>  This Inner Loop Header: Depth=2
	s_add_u32 s20, s4, s16
	s_addc_u32 s21, s5, s17
	global_load_ubyte v2, v27, s[20:21]
	s_add_u32 s16, s16, 1
	s_addc_u32 s17, s17, 0
	s_waitcnt vmcnt(0)
	v_and_b32_e32 v26, 0xffff, v2
	v_lshlrev_b64 v[2:3], s14, v[26:27]
	s_add_u32 s14, s14, 8
	s_addc_u32 s15, s15, 0
	v_or_b32_e32 v16, v2, v16
	s_cmp_lg_u32 s19, s16
	v_or_b32_e32 v17, v3, v17
	s_cbranch_scc1 .LBB6_742
	s_branch .LBB6_745
.LBB6_743:                              ;   in Loop: Header=BB6_704 Depth=1
	s_mov_b64 s[14:15], -1
                                        ; implicit-def: $sgpr18
	s_branch .LBB6_746
.LBB6_744:                              ;   in Loop: Header=BB6_704 Depth=1
	v_pk_mov_b32 v[16:17], 0, 0
.LBB6_745:                              ;   in Loop: Header=BB6_704 Depth=1
	s_mov_b64 s[14:15], 0
	s_mov_b32 s18, 0
.LBB6_746:                              ;   in Loop: Header=BB6_704 Depth=1
	s_andn2_b64 vcc, exec, s[14:15]
	s_cbranch_vccnz .LBB6_748
; %bb.747:                              ;   in Loop: Header=BB6_704 Depth=1
	global_load_dwordx2 v[16:17], v27, s[4:5]
	s_add_i32 s18, s19, -8
	s_add_u32 s4, s4, 8
	s_addc_u32 s5, s5, 0
.LBB6_748:                              ;   in Loop: Header=BB6_704 Depth=1
	s_cmp_gt_u32 s18, 7
	s_cbranch_scc1 .LBB6_752
; %bb.749:                              ;   in Loop: Header=BB6_704 Depth=1
	s_cmp_eq_u32 s18, 0
	s_cbranch_scc1 .LBB6_753
; %bb.750:                              ;   in Loop: Header=BB6_704 Depth=1
	s_mov_b64 s[14:15], 0
	v_pk_mov_b32 v[18:19], 0, 0
	s_mov_b64 s[16:17], 0
.LBB6_751:                              ;   Parent Loop BB6_704 Depth=1
                                        ; =>  This Inner Loop Header: Depth=2
	s_add_u32 s20, s4, s16
	s_addc_u32 s21, s5, s17
	global_load_ubyte v2, v27, s[20:21]
	s_add_u32 s16, s16, 1
	s_addc_u32 s17, s17, 0
	s_waitcnt vmcnt(0)
	v_and_b32_e32 v26, 0xffff, v2
	v_lshlrev_b64 v[2:3], s14, v[26:27]
	s_add_u32 s14, s14, 8
	s_addc_u32 s15, s15, 0
	v_or_b32_e32 v18, v2, v18
	s_cmp_lg_u32 s18, s16
	v_or_b32_e32 v19, v3, v19
	s_cbranch_scc1 .LBB6_751
	s_branch .LBB6_754
.LBB6_752:                              ;   in Loop: Header=BB6_704 Depth=1
	s_mov_b64 s[14:15], -1
                                        ; implicit-def: $vgpr18_vgpr19
                                        ; implicit-def: $sgpr19
	s_branch .LBB6_755
.LBB6_753:                              ;   in Loop: Header=BB6_704 Depth=1
	v_pk_mov_b32 v[18:19], 0, 0
.LBB6_754:                              ;   in Loop: Header=BB6_704 Depth=1
	s_mov_b64 s[14:15], 0
	s_mov_b32 s19, 0
.LBB6_755:                              ;   in Loop: Header=BB6_704 Depth=1
	s_andn2_b64 vcc, exec, s[14:15]
	s_cbranch_vccnz .LBB6_757
; %bb.756:                              ;   in Loop: Header=BB6_704 Depth=1
	global_load_dwordx2 v[18:19], v27, s[4:5]
	s_add_i32 s19, s18, -8
	s_add_u32 s4, s4, 8
	s_addc_u32 s5, s5, 0
.LBB6_757:                              ;   in Loop: Header=BB6_704 Depth=1
	s_cmp_gt_u32 s19, 7
	s_cbranch_scc1 .LBB6_761
; %bb.758:                              ;   in Loop: Header=BB6_704 Depth=1
	s_cmp_eq_u32 s19, 0
	s_cbranch_scc1 .LBB6_762
; %bb.759:                              ;   in Loop: Header=BB6_704 Depth=1
	s_mov_b64 s[14:15], 0
	v_pk_mov_b32 v[20:21], 0, 0
	s_mov_b64 s[16:17], s[4:5]
.LBB6_760:                              ;   Parent Loop BB6_704 Depth=1
                                        ; =>  This Inner Loop Header: Depth=2
	global_load_ubyte v2, v27, s[16:17]
	s_add_i32 s19, s19, -1
	s_waitcnt vmcnt(0)
	v_and_b32_e32 v26, 0xffff, v2
	v_lshlrev_b64 v[2:3], s14, v[26:27]
	s_add_u32 s14, s14, 8
	s_addc_u32 s15, s15, 0
	s_add_u32 s16, s16, 1
	s_addc_u32 s17, s17, 0
	v_or_b32_e32 v20, v2, v20
	s_cmp_lg_u32 s19, 0
	v_or_b32_e32 v21, v3, v21
	s_cbranch_scc1 .LBB6_760
	s_branch .LBB6_763
.LBB6_761:                              ;   in Loop: Header=BB6_704 Depth=1
	s_mov_b64 s[14:15], -1
	s_branch .LBB6_764
.LBB6_762:                              ;   in Loop: Header=BB6_704 Depth=1
	v_pk_mov_b32 v[20:21], 0, 0
.LBB6_763:                              ;   in Loop: Header=BB6_704 Depth=1
	s_mov_b64 s[14:15], 0
.LBB6_764:                              ;   in Loop: Header=BB6_704 Depth=1
	s_andn2_b64 vcc, exec, s[14:15]
	s_cbranch_vccnz .LBB6_766
; %bb.765:                              ;   in Loop: Header=BB6_704 Depth=1
	global_load_dwordx2 v[20:21], v27, s[4:5]
.LBB6_766:                              ;   in Loop: Header=BB6_704 Depth=1
	v_readfirstlane_b32 s4, v30
	v_cmp_eq_u32_e64 s[4:5], s4, v30
	v_pk_mov_b32 v[2:3], 0, 0
	s_and_saveexec_b64 s[14:15], s[4:5]
	s_cbranch_execz .LBB6_772
; %bb.767:                              ;   in Loop: Header=BB6_704 Depth=1
	global_load_dwordx2 v[24:25], v27, s[6:7] offset:24 glc
	s_waitcnt vmcnt(0)
	buffer_invl2
	buffer_wbinvl1_vol
	global_load_dwordx2 v[2:3], v27, s[6:7] offset:40
	global_load_dwordx2 v[22:23], v27, s[6:7]
	s_waitcnt vmcnt(1)
	v_and_b32_e32 v2, v2, v24
	v_and_b32_e32 v3, v3, v25
	v_mul_lo_u32 v3, v3, 24
	v_mul_hi_u32 v26, v2, 24
	v_mul_lo_u32 v2, v2, 24
	v_add_u32_e32 v3, v26, v3
	s_waitcnt vmcnt(0)
	v_add_co_u32_e32 v2, vcc, v22, v2
	v_addc_co_u32_e32 v3, vcc, v23, v3, vcc
	global_load_dwordx2 v[22:23], v[2:3], off glc
	s_waitcnt vmcnt(0)
	global_atomic_cmpswap_x2 v[2:3], v27, v[22:25], s[6:7] offset:24 glc
	s_waitcnt vmcnt(0)
	buffer_invl2
	buffer_wbinvl1_vol
	v_cmp_ne_u64_e32 vcc, v[2:3], v[24:25]
	s_and_saveexec_b64 s[16:17], vcc
	s_cbranch_execz .LBB6_771
; %bb.768:                              ;   in Loop: Header=BB6_704 Depth=1
	s_mov_b64 s[18:19], 0
.LBB6_769:                              ;   Parent Loop BB6_704 Depth=1
                                        ; =>  This Inner Loop Header: Depth=2
	s_sleep 1
	global_load_dwordx2 v[22:23], v27, s[6:7] offset:40
	global_load_dwordx2 v[28:29], v27, s[6:7]
	v_pk_mov_b32 v[24:25], v[2:3], v[2:3] op_sel:[0,1]
	s_waitcnt vmcnt(1)
	v_and_b32_e32 v2, v22, v24
	s_waitcnt vmcnt(0)
	v_mad_u64_u32 v[2:3], s[20:21], v2, 24, v[28:29]
	v_and_b32_e32 v23, v23, v25
	v_mov_b32_e32 v22, v3
	v_mad_u64_u32 v[22:23], s[20:21], v23, 24, v[22:23]
	v_mov_b32_e32 v3, v22
	global_load_dwordx2 v[22:23], v[2:3], off glc
	s_waitcnt vmcnt(0)
	global_atomic_cmpswap_x2 v[2:3], v27, v[22:25], s[6:7] offset:24 glc
	s_waitcnt vmcnt(0)
	buffer_invl2
	buffer_wbinvl1_vol
	v_cmp_eq_u64_e32 vcc, v[2:3], v[24:25]
	s_or_b64 s[18:19], vcc, s[18:19]
	s_andn2_b64 exec, exec, s[18:19]
	s_cbranch_execnz .LBB6_769
; %bb.770:                              ;   in Loop: Header=BB6_704 Depth=1
	s_or_b64 exec, exec, s[18:19]
.LBB6_771:                              ;   in Loop: Header=BB6_704 Depth=1
	s_or_b64 exec, exec, s[16:17]
.LBB6_772:                              ;   in Loop: Header=BB6_704 Depth=1
	s_or_b64 exec, exec, s[14:15]
	global_load_dwordx2 v[28:29], v27, s[6:7] offset:40
	global_load_dwordx4 v[22:25], v27, s[6:7]
	v_readfirstlane_b32 s14, v2
	v_readfirstlane_b32 s15, v3
	s_mov_b64 s[16:17], exec
	s_waitcnt vmcnt(1)
	v_readfirstlane_b32 s18, v28
	v_readfirstlane_b32 s19, v29
	s_and_b64 s[18:19], s[14:15], s[18:19]
	s_mul_i32 s20, s19, 24
	s_mul_hi_u32 s21, s18, 24
	s_mul_i32 s22, s18, 24
	s_add_i32 s20, s21, s20
	v_mov_b32_e32 v2, s20
	s_waitcnt vmcnt(0)
	v_add_co_u32_e32 v28, vcc, s22, v22
	v_addc_co_u32_e32 v29, vcc, v23, v2, vcc
	s_and_saveexec_b64 s[20:21], s[4:5]
	s_cbranch_execz .LBB6_774
; %bb.773:                              ;   in Loop: Header=BB6_704 Depth=1
	v_pk_mov_b32 v[2:3], s[16:17], s[16:17] op_sel:[0,1]
	global_store_dwordx4 v[28:29], v[2:5], off offset:8
.LBB6_774:                              ;   in Loop: Header=BB6_704 Depth=1
	s_or_b64 exec, exec, s[20:21]
	s_lshl_b64 s[16:17], s[18:19], 12
	v_mov_b32_e32 v3, s17
	v_add_co_u32_e32 v2, vcc, s16, v24
	v_addc_co_u32_e32 v3, vcc, v25, v3, vcc
	v_or_b32_e32 v24, 2, v6
	v_cmp_gt_u64_e64 vcc, s[10:11], 56
	s_lshl_b32 s16, s12, 2
	v_cndmask_b32_e32 v6, v24, v6, vcc
	s_add_i32 s16, s16, 28
	s_and_b32 s16, s16, 0x1e0
	v_and_b32_e32 v6, 0xffffff1f, v6
	v_or_b32_e32 v6, s16, v6
	v_readfirstlane_b32 s16, v2
	v_readfirstlane_b32 s17, v3
	s_nop 4
	global_store_dwordx4 v31, v[6:9], s[16:17]
	global_store_dwordx4 v31, v[10:13], s[16:17] offset:16
	global_store_dwordx4 v31, v[14:17], s[16:17] offset:32
	;; [unrolled: 1-line block ×3, first 2 shown]
	s_and_saveexec_b64 s[16:17], s[4:5]
	s_cbranch_execz .LBB6_782
; %bb.775:                              ;   in Loop: Header=BB6_704 Depth=1
	global_load_dwordx2 v[14:15], v27, s[6:7] offset:32 glc
	global_load_dwordx2 v[6:7], v27, s[6:7] offset:40
	v_mov_b32_e32 v12, s14
	v_mov_b32_e32 v13, s15
	s_waitcnt vmcnt(0)
	v_readfirstlane_b32 s18, v6
	v_readfirstlane_b32 s19, v7
	s_and_b64 s[18:19], s[18:19], s[14:15]
	s_mul_i32 s19, s19, 24
	s_mul_hi_u32 s20, s18, 24
	s_mul_i32 s18, s18, 24
	s_add_i32 s19, s20, s19
	v_mov_b32_e32 v6, s19
	v_add_co_u32_e32 v10, vcc, s18, v22
	v_addc_co_u32_e32 v11, vcc, v23, v6, vcc
	global_store_dwordx2 v[10:11], v[14:15], off
	buffer_wbl2
	s_waitcnt vmcnt(0)
	global_atomic_cmpswap_x2 v[8:9], v27, v[12:15], s[6:7] offset:32 glc
	s_waitcnt vmcnt(0)
	v_cmp_ne_u64_e32 vcc, v[8:9], v[14:15]
	s_and_saveexec_b64 s[18:19], vcc
	s_cbranch_execz .LBB6_778
; %bb.776:                              ;   in Loop: Header=BB6_704 Depth=1
	s_mov_b64 s[20:21], 0
.LBB6_777:                              ;   Parent Loop BB6_704 Depth=1
                                        ; =>  This Inner Loop Header: Depth=2
	s_sleep 1
	global_store_dwordx2 v[10:11], v[8:9], off
	v_mov_b32_e32 v6, s14
	v_mov_b32_e32 v7, s15
	buffer_wbl2
	s_waitcnt vmcnt(0)
	global_atomic_cmpswap_x2 v[6:7], v27, v[6:9], s[6:7] offset:32 glc
	s_waitcnt vmcnt(0)
	v_cmp_eq_u64_e32 vcc, v[6:7], v[8:9]
	s_or_b64 s[20:21], vcc, s[20:21]
	v_pk_mov_b32 v[8:9], v[6:7], v[6:7] op_sel:[0,1]
	s_andn2_b64 exec, exec, s[20:21]
	s_cbranch_execnz .LBB6_777
.LBB6_778:                              ;   in Loop: Header=BB6_704 Depth=1
	s_or_b64 exec, exec, s[18:19]
	global_load_dwordx2 v[6:7], v27, s[6:7] offset:16
	s_mov_b64 s[20:21], exec
	v_mbcnt_lo_u32_b32 v8, s20, 0
	v_mbcnt_hi_u32_b32 v8, s21, v8
	v_cmp_eq_u32_e32 vcc, 0, v8
	s_and_saveexec_b64 s[18:19], vcc
	s_cbranch_execz .LBB6_780
; %bb.779:                              ;   in Loop: Header=BB6_704 Depth=1
	s_bcnt1_i32_b64 s20, s[20:21]
	v_mov_b32_e32 v26, s20
	buffer_wbl2
	s_waitcnt vmcnt(0)
	global_atomic_add_x2 v[6:7], v[26:27], off offset:8
.LBB6_780:                              ;   in Loop: Header=BB6_704 Depth=1
	s_or_b64 exec, exec, s[18:19]
	s_waitcnt vmcnt(0)
	global_load_dwordx2 v[8:9], v[6:7], off offset:16
	s_waitcnt vmcnt(0)
	v_cmp_eq_u64_e32 vcc, 0, v[8:9]
	s_cbranch_vccnz .LBB6_782
; %bb.781:                              ;   in Loop: Header=BB6_704 Depth=1
	global_load_dword v26, v[6:7], off offset:24
	s_waitcnt vmcnt(0)
	v_and_b32_e32 v6, 0xffffff, v26
	v_readfirstlane_b32 m0, v6
	buffer_wbl2
	global_store_dwordx2 v[8:9], v[26:27], off
	s_sendmsg sendmsg(MSG_INTERRUPT)
.LBB6_782:                              ;   in Loop: Header=BB6_704 Depth=1
	s_or_b64 exec, exec, s[16:17]
	v_add_co_u32_e32 v2, vcc, v2, v31
	v_addc_co_u32_e32 v3, vcc, 0, v3, vcc
	s_branch .LBB6_784
.LBB6_783:                              ;   in Loop: Header=BB6_704 Depth=1
	s_branch .LBB6_788
.LBB6_784:                              ;   Parent Loop BB6_704 Depth=1
                                        ; =>  This Inner Loop Header: Depth=2
	v_mov_b32_e32 v6, 1
	s_and_saveexec_b64 s[16:17], s[4:5]
	s_cbranch_execz .LBB6_786
; %bb.785:                              ;   in Loop: Header=BB6_784 Depth=2
	global_load_dword v6, v[28:29], off offset:20 glc
	s_waitcnt vmcnt(0)
	buffer_invl2
	buffer_wbinvl1_vol
	v_and_b32_e32 v6, 1, v6
.LBB6_786:                              ;   in Loop: Header=BB6_784 Depth=2
	s_or_b64 exec, exec, s[16:17]
	v_readfirstlane_b32 s16, v6
	s_cmp_eq_u32 s16, 0
	s_cbranch_scc1 .LBB6_783
; %bb.787:                              ;   in Loop: Header=BB6_784 Depth=2
	s_sleep 1
	s_cbranch_execnz .LBB6_784
.LBB6_788:                              ;   in Loop: Header=BB6_704 Depth=1
	global_load_dwordx4 v[6:9], v[2:3], off
	s_and_saveexec_b64 s[16:17], s[4:5]
	s_cbranch_execz .LBB6_703
; %bb.789:                              ;   in Loop: Header=BB6_704 Depth=1
	global_load_dwordx2 v[2:3], v27, s[6:7] offset:40
	global_load_dwordx2 v[12:13], v27, s[6:7] offset:24 glc
	global_load_dwordx2 v[14:15], v27, s[6:7]
	s_waitcnt vmcnt(3)
	v_mov_b32_e32 v9, s15
	s_waitcnt vmcnt(2)
	v_add_co_u32_e32 v11, vcc, 1, v2
	v_addc_co_u32_e32 v16, vcc, 0, v3, vcc
	v_add_co_u32_e32 v8, vcc, s14, v11
	v_addc_co_u32_e32 v9, vcc, v16, v9, vcc
	v_cmp_eq_u64_e32 vcc, 0, v[8:9]
	v_cndmask_b32_e32 v9, v9, v16, vcc
	v_cndmask_b32_e32 v8, v8, v11, vcc
	v_and_b32_e32 v3, v9, v3
	v_and_b32_e32 v2, v8, v2
	v_mul_lo_u32 v3, v3, 24
	v_mul_hi_u32 v11, v2, 24
	v_mul_lo_u32 v2, v2, 24
	v_add_u32_e32 v3, v11, v3
	s_waitcnt vmcnt(0)
	v_add_co_u32_e32 v2, vcc, v14, v2
	v_addc_co_u32_e32 v3, vcc, v15, v3, vcc
	v_mov_b32_e32 v10, v12
	global_store_dwordx2 v[2:3], v[12:13], off
	v_mov_b32_e32 v11, v13
	buffer_wbl2
	s_waitcnt vmcnt(0)
	global_atomic_cmpswap_x2 v[10:11], v27, v[8:11], s[6:7] offset:24 glc
	s_waitcnt vmcnt(0)
	v_cmp_ne_u64_e32 vcc, v[10:11], v[12:13]
	s_and_b64 exec, exec, vcc
	s_cbranch_execz .LBB6_703
; %bb.790:                              ;   in Loop: Header=BB6_704 Depth=1
	s_mov_b64 s[4:5], 0
.LBB6_791:                              ;   Parent Loop BB6_704 Depth=1
                                        ; =>  This Inner Loop Header: Depth=2
	s_sleep 1
	global_store_dwordx2 v[2:3], v[10:11], off
	buffer_wbl2
	s_waitcnt vmcnt(0)
	global_atomic_cmpswap_x2 v[12:13], v27, v[8:11], s[6:7] offset:24 glc
	s_waitcnt vmcnt(0)
	v_cmp_eq_u64_e32 vcc, v[12:13], v[10:11]
	s_or_b64 s[4:5], vcc, s[4:5]
	v_pk_mov_b32 v[10:11], v[12:13], v[12:13] op_sel:[0,1]
	s_andn2_b64 exec, exec, s[4:5]
	s_cbranch_execnz .LBB6_791
	s_branch .LBB6_703
.LBB6_792:
	s_or_b64 exec, exec, s[74:75]
	s_and_saveexec_b64 s[4:5], s[72:73]
	s_xor_b64 s[68:69], exec, s[4:5]
	s_cbranch_execz .LBB6_794
.LBB6_793:
	s_getpc_b64 s[4:5]
	s_add_u32 s4, s4, .str.39@rel32@lo+4
	s_addc_u32 s5, s5, .str.39@rel32@hi+12
	s_getpc_b64 s[6:7]
	s_add_u32 s6, s6, .str.31@rel32@lo+4
	s_addc_u32 s7, s7, .str.31@rel32@hi+12
	s_getpc_b64 s[10:11]
	s_add_u32 s10, s10, __PRETTY_FUNCTION__._ZN3sop17sopDivideInternalEPNS_3SopES1_S1_S1_P7VecsMemIjLi8192EE@rel32@lo+4
	s_addc_u32 s11, s11, __PRETTY_FUNCTION__._ZN3sop17sopDivideInternalEPNS_3SopES1_S1_S1_P7VecsMemIjLi8192EE@rel32@hi+12
	s_mov_b64 s[8:9], s[48:49]
	v_mov_b32_e32 v0, s4
	v_mov_b32_e32 v1, s5
	;; [unrolled: 1-line block ×7, first 2 shown]
	s_getpc_b64 s[12:13]
	s_add_u32 s12, s12, __assert_fail@rel32@lo+4
	s_addc_u32 s13, s13, __assert_fail@rel32@hi+12
	s_swappc_b64 s[30:31], s[12:13]
	s_or_b64 s[66:67], s[66:67], exec
                                        ; implicit-def: $vgpr40
.LBB6_794:
	s_or_b64 exec, exec, s[68:69]
	s_andn2_b64 s[4:5], s[26:27], exec
	s_and_b64 s[6:7], s[66:67], exec
	s_or_b64 s[26:27], s[4:5], s[6:7]
	s_and_b64 s[6:7], s[44:45], exec
.LBB6_795:
	s_or_b64 exec, exec, s[78:79]
	s_andn2_b64 s[4:5], s[64:65], exec
	s_and_b64 s[8:9], s[26:27], exec
	s_or_b64 s[44:45], s[4:5], s[8:9]
	s_and_b64 s[26:27], s[6:7], exec
.LBB6_796:
	s_andn2_saveexec_b64 s[42:43], s[42:43]
	s_cbranch_execz .LBB6_798
; %bb.797:
	s_getpc_b64 s[4:5]
	s_add_u32 s4, s4, .str.38@rel32@lo+4
	s_addc_u32 s5, s5, .str.38@rel32@hi+12
	s_getpc_b64 s[6:7]
	s_add_u32 s6, s6, .str.31@rel32@lo+4
	s_addc_u32 s7, s7, .str.31@rel32@hi+12
	s_getpc_b64 s[10:11]
	s_add_u32 s10, s10, __PRETTY_FUNCTION__._ZN3sop17sopDivideInternalEPNS_3SopES1_S1_S1_P7VecsMemIjLi8192EE@rel32@lo+4
	s_addc_u32 s11, s11, __PRETTY_FUNCTION__._ZN3sop17sopDivideInternalEPNS_3SopES1_S1_S1_P7VecsMemIjLi8192EE@rel32@hi+12
	s_mov_b64 s[8:9], s[48:49]
	v_mov_b32_e32 v0, s4
	v_mov_b32_e32 v1, s5
	;; [unrolled: 1-line block ×7, first 2 shown]
	s_getpc_b64 s[12:13]
	s_add_u32 s12, s12, __assert_fail@rel32@lo+4
	s_addc_u32 s13, s13, __assert_fail@rel32@hi+12
	s_swappc_b64 s[30:31], s[12:13]
	s_or_b64 s[44:45], s[44:45], exec
                                        ; implicit-def: $vgpr40
.LBB6_798:
	s_or_b64 exec, exec, s[42:43]
	s_andn2_b64 s[4:5], s[64:65], exec
	s_and_b64 s[6:7], s[44:45], exec
	s_or_b64 s[68:69], s[4:5], s[6:7]
	s_and_b64 s[10:11], s[26:27], exec
                                        ; implicit-def: $vgpr45
                                        ; implicit-def: $vgpr56
                                        ; implicit-def: $vgpr54_vgpr55
                                        ; implicit-def: $vgpr44
                                        ; implicit-def: $vgpr58_vgpr59
                                        ; implicit-def: $vgpr22_vgpr23
                                        ; implicit-def: $vgpr20_vgpr21
                                        ; implicit-def: $vgpr41
                                        ; implicit-def: $vgpr24_vgpr25
.LBB6_799:
	s_or_saveexec_b64 s[12:13], s[40:41]
	s_mov_b64 s[40:41], 0
	s_xor_b64 exec, exec, s[12:13]
	s_cbranch_execz .LBB6_1541
; %bb.800:
	flat_load_dword v5, v[54:55]
	s_waitcnt lgkmcnt(0)
	v_and_b32_e32 v6, 0x7ffffffe, v44
	s_mov_b32 s24, 0
	v_cmp_lt_i32_e32 vcc, 0, v44
	v_cmp_ne_u32_e64 s[4:5], 1, v44
	v_cmp_ne_u32_e64 s[6:7], v44, v6
	s_mov_b64 s[14:15], 0
	v_mov_b32_e32 v7, -1
	v_mov_b32_e32 v1, 0
	v_mov_b32_e32 v4, -1
	s_branch .LBB6_804
.LBB6_801:                              ;   in Loop: Header=BB6_804 Depth=1
	s_or_b64 exec, exec, s[20:21]
.LBB6_802:                              ;   in Loop: Header=BB6_804 Depth=1
	s_or_b64 exec, exec, s[18:19]
	v_max_i32_e32 v0, 1, v7
	v_mov_b32_e32 v2, s24
	v_cmp_lt_i32_e64 s[8:9], v0, v8
	v_cndmask_b32_e64 v4, v4, v2, s[8:9]
	v_cndmask_b32_e64 v7, v7, v8, s[8:9]
.LBB6_803:                              ;   in Loop: Header=BB6_804 Depth=1
	s_or_b64 exec, exec, s[16:17]
	s_add_i32 s24, s24, 1
	v_cmp_eq_u32_e64 s[8:9], s24, v41
	s_or_b64 s[14:15], s[8:9], s[14:15]
	s_andn2_b64 exec, exec, s[14:15]
	s_cbranch_execz .LBB6_814
.LBB6_804:                              ; =>This Loop Header: Depth=1
                                        ;     Child Loop BB6_808 Depth 2
                                        ;     Child Loop BB6_812 Depth 2
	s_waitcnt vmcnt(0)
	v_lshrrev_b32_e32 v0, s24, v5
	v_and_b32_e32 v0, 1, v0
	v_cmp_eq_u32_e64 s[8:9], 1, v0
	s_and_saveexec_b64 s[16:17], s[8:9]
	s_cbranch_execz .LBB6_803
; %bb.805:                              ;   in Loop: Header=BB6_804 Depth=1
	v_mov_b32_e32 v8, 0
	s_and_saveexec_b64 s[18:19], vcc
	s_cbranch_execz .LBB6_802
; %bb.806:                              ;   in Loop: Header=BB6_804 Depth=1
	s_mov_b64 s[8:9], -1
	v_mov_b32_e32 v0, 0
	v_mov_b32_e32 v8, 0
	s_and_saveexec_b64 s[20:21], s[4:5]
	s_cbranch_execz .LBB6_810
; %bb.807:                              ;   in Loop: Header=BB6_804 Depth=1
	s_mov_b32 s25, s24
	s_mov_b64 s[22:23], 0
	v_mov_b32_e32 v0, 0
	v_mov_b32_e32 v8, v6
	v_pk_mov_b32 v[2:3], v[58:59], v[58:59] op_sel:[0,1]
	v_mov_b32_e32 v9, 0
.LBB6_808:                              ;   Parent Loop BB6_804 Depth=1
                                        ; =>  This Inner Loop Header: Depth=2
	flat_load_dwordx2 v[10:11], v[2:3]
	v_add_co_u32_e64 v2, s[8:9], 8, v2
	v_addc_co_u32_e64 v3, s[8:9], 0, v3, s[8:9]
	v_add_u32_e32 v8, -2, v8
	v_cmp_eq_u32_e64 s[8:9], 0, v8
	s_or_b64 s[22:23], s[8:9], s[22:23]
	s_waitcnt vmcnt(0) lgkmcnt(0)
	v_bfe_u32 v10, v10, s24, 1
	v_bfe_u32 v11, v11, s25, 1
	v_add_u32_e32 v9, v11, v9
	v_add_u32_e32 v0, v10, v0
	s_andn2_b64 exec, exec, s[22:23]
	s_cbranch_execnz .LBB6_808
; %bb.809:                              ;   in Loop: Header=BB6_804 Depth=1
	s_or_b64 exec, exec, s[22:23]
	v_add_u32_e32 v8, v0, v9
	s_orn2_b64 s[8:9], s[6:7], exec
	v_mov_b32_e32 v0, v6
.LBB6_810:                              ;   in Loop: Header=BB6_804 Depth=1
	s_or_b64 exec, exec, s[20:21]
	s_and_saveexec_b64 s[20:21], s[8:9]
	s_cbranch_execz .LBB6_801
; %bb.811:                              ;   in Loop: Header=BB6_804 Depth=1
	v_lshlrev_b64 v[2:3], 2, v[0:1]
	v_add_co_u32_e64 v2, s[8:9], v58, v2
	v_sub_u32_e32 v9, v44, v0
	v_addc_co_u32_e64 v3, s[8:9], v59, v3, s[8:9]
	s_mov_b64 s[22:23], 0
.LBB6_812:                              ;   Parent Loop BB6_804 Depth=1
                                        ; =>  This Inner Loop Header: Depth=2
	flat_load_dword v0, v[2:3]
	v_add_co_u32_e64 v2, s[8:9], 4, v2
	v_add_u32_e32 v9, -1, v9
	v_addc_co_u32_e64 v3, s[8:9], 0, v3, s[8:9]
	v_cmp_eq_u32_e64 s[8:9], 0, v9
	s_or_b64 s[22:23], s[8:9], s[22:23]
	s_waitcnt vmcnt(0) lgkmcnt(0)
	v_bfe_u32 v0, v0, s24, 1
	v_add_u32_e32 v8, v0, v8
	s_andn2_b64 exec, exec, s[22:23]
	s_cbranch_execnz .LBB6_812
; %bb.813:                              ;   in Loop: Header=BB6_804 Depth=1
	s_or_b64 exec, exec, s[22:23]
	s_branch .LBB6_801
.LBB6_814:
	s_or_b64 exec, exec, s[14:15]
	flat_load_dword v0, v[22:23]
	s_movk_i32 s14, 0x2000
	s_mov_b64 s[4:5], 0
	s_mov_b64 s[6:7], -1
	s_mov_b64 s[8:9], s[10:11]
                                        ; implicit-def: $vgpr40
	s_waitcnt vmcnt(0) lgkmcnt(0)
	v_cmp_gt_i32_e32 vcc, s14, v0
	s_mov_b64 s[14:15], s[68:69]
	s_and_saveexec_b64 s[70:71], vcc
	s_cbranch_execz .LBB6_1540
; %bb.815:
	v_add_u32_e32 v1, 1, v0
	flat_store_dword v[22:23], v1
	v_ashrrev_i32_e32 v1, 31, v0
	v_lshlrev_b64 v[0:1], 2, v[0:1]
	v_add_co_u32_e32 v54, vcc, v45, v0
	v_lshlrev_b32_e64 v57, v4, 1
	v_addc_co_u32_e32 v55, vcc, v56, v1, vcc
	flat_store_dword v[54:55], v57
	flat_load_dword v44, v[24:25] offset:4
	v_mov_b32_e32 v0, 0
	v_pk_mov_b32 v[42:43], 0, 0
	s_mov_b64 s[72:73], s[68:69]
	buffer_store_dword v0, off, s[0:3], s33 offset:116
	s_waitcnt vmcnt(0) lgkmcnt(0)
	v_cmp_lt_i32_e64 s[26:27], 0, v44
	s_and_saveexec_b64 s[38:39], s[26:27]
	s_cbranch_execz .LBB6_966
; %bb.816:
	flat_load_dword v0, v[22:23]
	s_movk_i32 s4, 0x2001
	s_mov_b64 s[40:41], 0
	v_pk_mov_b32 v[42:43], 0, 0
	s_waitcnt vmcnt(0) lgkmcnt(0)
	v_add_u32_e32 v0, v0, v44
	v_cmp_gt_i32_e32 vcc, s4, v0
	s_and_saveexec_b64 s[4:5], vcc
	s_xor_b64 s[4:5], exec, s[4:5]
	s_cbranch_execz .LBB6_818
; %bb.817:
	v_ashrrev_i32_e32 v1, 31, v0
	flat_store_dword v[22:23], v0
	v_lshlrev_b64 v[0:1], 2, v[0:1]
	v_add_co_u32_e32 v2, vcc, v22, v0
	v_mov_b32_e32 v45, 0
	v_addc_co_u32_e32 v3, vcc, v23, v1, vcc
	v_lshlrev_b64 v[0:1], 2, v[44:45]
	v_sub_co_u32_e32 v0, vcc, v2, v0
	v_subb_co_u32_e32 v1, vcc, v3, v1, vcc
	v_add_co_u32_e32 v42, vcc, 4, v0
	s_mov_b64 s[40:41], exec
	v_addc_co_u32_e32 v43, vcc, 0, v1, vcc
.LBB6_818:
	s_or_saveexec_b64 s[42:43], s[4:5]
	s_mov_b64 s[4:5], s[68:69]
	s_xor_b64 exec, exec, s[42:43]
	s_cbranch_execz .LBB6_965
; %bb.819:
	s_load_dwordx2 s[6:7], s[48:49], 0x50
	v_mbcnt_lo_u32_b32 v0, -1, 0
	v_mbcnt_hi_u32_b32 v31, -1, v0
	v_accvgpr_write_b32 a4, v24
	v_accvgpr_write_b32 a2, v22
	;; [unrolled: 1-line block ×3, first 2 shown]
	v_readfirstlane_b32 s4, v31
	v_accvgpr_write_b32 a5, v25
	v_accvgpr_write_b32 a3, v23
	;; [unrolled: 1-line block ×3, first 2 shown]
	v_cmp_eq_u32_e64 s[4:5], s4, v31
	v_pk_mov_b32 v[6:7], 0, 0
	s_and_saveexec_b64 s[8:9], s[4:5]
	s_cbranch_execz .LBB6_825
; %bb.820:
	v_mov_b32_e32 v0, 0
	s_waitcnt lgkmcnt(0)
	global_load_dwordx2 v[4:5], v0, s[6:7] offset:24 glc
	s_waitcnt vmcnt(0)
	buffer_invl2
	buffer_wbinvl1_vol
	global_load_dwordx2 v[2:3], v0, s[6:7] offset:40
	global_load_dwordx2 v[6:7], v0, s[6:7]
	s_waitcnt vmcnt(1)
	v_and_b32_e32 v1, v2, v4
	v_and_b32_e32 v2, v3, v5
	v_mul_lo_u32 v2, v2, 24
	v_mul_hi_u32 v3, v1, 24
	v_mul_lo_u32 v1, v1, 24
	v_add_u32_e32 v3, v3, v2
	s_waitcnt vmcnt(0)
	v_add_co_u32_e32 v2, vcc, v6, v1
	v_addc_co_u32_e32 v3, vcc, v7, v3, vcc
	global_load_dwordx2 v[2:3], v[2:3], off glc
	s_waitcnt vmcnt(0)
	global_atomic_cmpswap_x2 v[6:7], v0, v[2:5], s[6:7] offset:24 glc
	s_waitcnt vmcnt(0)
	buffer_invl2
	buffer_wbinvl1_vol
	v_cmp_ne_u64_e32 vcc, v[6:7], v[4:5]
	s_and_saveexec_b64 s[14:15], vcc
	s_cbranch_execz .LBB6_824
; %bb.821:
	s_mov_b64 s[16:17], 0
.LBB6_822:                              ; =>This Inner Loop Header: Depth=1
	s_sleep 1
	global_load_dwordx2 v[2:3], v0, s[6:7] offset:40
	global_load_dwordx2 v[8:9], v0, s[6:7]
	v_pk_mov_b32 v[4:5], v[6:7], v[6:7] op_sel:[0,1]
	s_waitcnt vmcnt(1)
	v_and_b32_e32 v2, v2, v4
	v_and_b32_e32 v1, v3, v5
	s_waitcnt vmcnt(0)
	v_mad_u64_u32 v[2:3], s[18:19], v2, 24, v[8:9]
	v_mov_b32_e32 v6, v3
	v_mad_u64_u32 v[6:7], s[18:19], v1, 24, v[6:7]
	v_mov_b32_e32 v3, v6
	global_load_dwordx2 v[2:3], v[2:3], off glc
	s_waitcnt vmcnt(0)
	global_atomic_cmpswap_x2 v[6:7], v0, v[2:5], s[6:7] offset:24 glc
	s_waitcnt vmcnt(0)
	buffer_invl2
	buffer_wbinvl1_vol
	v_cmp_eq_u64_e32 vcc, v[6:7], v[4:5]
	s_or_b64 s[16:17], vcc, s[16:17]
	s_andn2_b64 exec, exec, s[16:17]
	s_cbranch_execnz .LBB6_822
; %bb.823:
	s_or_b64 exec, exec, s[16:17]
.LBB6_824:
	s_or_b64 exec, exec, s[14:15]
.LBB6_825:
	s_or_b64 exec, exec, s[8:9]
	v_mov_b32_e32 v5, 0
	s_waitcnt lgkmcnt(0)
	global_load_dwordx2 v[8:9], v5, s[6:7] offset:40
	global_load_dwordx4 v[0:3], v5, s[6:7]
	v_readfirstlane_b32 s8, v6
	v_readfirstlane_b32 s9, v7
	s_mov_b64 s[14:15], exec
	s_waitcnt vmcnt(0)
	v_readfirstlane_b32 s16, v8
	v_readfirstlane_b32 s17, v9
	s_and_b64 s[16:17], s[8:9], s[16:17]
	s_mul_i32 s18, s17, 24
	s_mul_hi_u32 s19, s16, 24
	s_mul_i32 s20, s16, 24
	s_add_i32 s18, s19, s18
	v_mov_b32_e32 v4, s18
	v_add_co_u32_e32 v8, vcc, s20, v0
	v_addc_co_u32_e32 v9, vcc, v1, v4, vcc
	s_and_saveexec_b64 s[18:19], s[4:5]
	s_cbranch_execz .LBB6_827
; %bb.826:
	v_pk_mov_b32 v[10:11], s[14:15], s[14:15] op_sel:[0,1]
	v_mov_b32_e32 v12, 2
	v_mov_b32_e32 v13, 1
	global_store_dwordx4 v[8:9], v[10:13], off offset:8
.LBB6_827:
	s_or_b64 exec, exec, s[18:19]
	s_lshl_b64 s[14:15], s[16:17], 12
	v_mov_b32_e32 v4, s15
	v_add_co_u32_e32 v2, vcc, s14, v2
	v_addc_co_u32_e32 v3, vcc, v3, v4, vcc
	s_mov_b32 s16, 0
	v_lshlrev_b32_e32 v30, 6, v31
	v_add_co_u32_e32 v10, vcc, v2, v30
	v_mov_b32_e32 v4, 33
	v_mov_b32_e32 v6, v5
	;; [unrolled: 1-line block ×3, first 2 shown]
	v_readfirstlane_b32 s14, v2
	v_readfirstlane_b32 s15, v3
	s_mov_b32 s17, s16
	v_addc_co_u32_e32 v11, vcc, 0, v3, vcc
	s_mov_b32 s18, s16
	s_mov_b32 s19, s16
	s_nop 0
	global_store_dwordx4 v30, v[4:7], s[14:15]
	v_pk_mov_b32 v[2:3], s[16:17], s[16:17] op_sel:[0,1]
	v_pk_mov_b32 v[4:5], s[18:19], s[18:19] op_sel:[0,1]
	global_store_dwordx4 v30, v[2:5], s[14:15] offset:16
	global_store_dwordx4 v30, v[2:5], s[14:15] offset:32
	;; [unrolled: 1-line block ×3, first 2 shown]
	s_and_saveexec_b64 s[14:15], s[4:5]
	s_cbranch_execz .LBB6_835
; %bb.828:
	v_mov_b32_e32 v6, 0
	global_load_dwordx2 v[14:15], v6, s[6:7] offset:32 glc
	global_load_dwordx2 v[2:3], v6, s[6:7] offset:40
	v_mov_b32_e32 v12, s8
	v_mov_b32_e32 v13, s9
	s_waitcnt vmcnt(0)
	v_and_b32_e32 v2, s8, v2
	v_and_b32_e32 v3, s9, v3
	v_mul_lo_u32 v3, v3, 24
	v_mul_hi_u32 v4, v2, 24
	v_mul_lo_u32 v2, v2, 24
	v_add_u32_e32 v3, v4, v3
	v_add_co_u32_e32 v4, vcc, v0, v2
	v_addc_co_u32_e32 v5, vcc, v1, v3, vcc
	global_store_dwordx2 v[4:5], v[14:15], off
	buffer_wbl2
	s_waitcnt vmcnt(0)
	global_atomic_cmpswap_x2 v[2:3], v6, v[12:15], s[6:7] offset:32 glc
	s_waitcnt vmcnt(0)
	v_cmp_ne_u64_e32 vcc, v[2:3], v[14:15]
	s_and_saveexec_b64 s[16:17], vcc
	s_cbranch_execz .LBB6_831
; %bb.829:
	s_mov_b64 s[18:19], 0
.LBB6_830:                              ; =>This Inner Loop Header: Depth=1
	s_sleep 1
	global_store_dwordx2 v[4:5], v[2:3], off
	v_mov_b32_e32 v0, s8
	v_mov_b32_e32 v1, s9
	buffer_wbl2
	s_waitcnt vmcnt(0)
	global_atomic_cmpswap_x2 v[0:1], v6, v[0:3], s[6:7] offset:32 glc
	s_waitcnt vmcnt(0)
	v_cmp_eq_u64_e32 vcc, v[0:1], v[2:3]
	s_or_b64 s[18:19], vcc, s[18:19]
	v_pk_mov_b32 v[2:3], v[0:1], v[0:1] op_sel:[0,1]
	s_andn2_b64 exec, exec, s[18:19]
	s_cbranch_execnz .LBB6_830
.LBB6_831:
	s_or_b64 exec, exec, s[16:17]
	v_mov_b32_e32 v3, 0
	global_load_dwordx2 v[0:1], v3, s[6:7] offset:16
	s_mov_b64 s[16:17], exec
	v_mbcnt_lo_u32_b32 v2, s16, 0
	v_mbcnt_hi_u32_b32 v2, s17, v2
	v_cmp_eq_u32_e32 vcc, 0, v2
	s_and_saveexec_b64 s[18:19], vcc
	s_cbranch_execz .LBB6_833
; %bb.832:
	s_bcnt1_i32_b64 s16, s[16:17]
	v_mov_b32_e32 v2, s16
	buffer_wbl2
	s_waitcnt vmcnt(0)
	global_atomic_add_x2 v[0:1], v[2:3], off offset:8
.LBB6_833:
	s_or_b64 exec, exec, s[18:19]
	s_waitcnt vmcnt(0)
	global_load_dwordx2 v[2:3], v[0:1], off offset:16
	s_waitcnt vmcnt(0)
	v_cmp_eq_u64_e32 vcc, 0, v[2:3]
	s_cbranch_vccnz .LBB6_835
; %bb.834:
	global_load_dword v0, v[0:1], off offset:24
	v_mov_b32_e32 v1, 0
	buffer_wbl2
	s_waitcnt vmcnt(0)
	global_store_dwordx2 v[2:3], v[0:1], off
	v_and_b32_e32 v0, 0xffffff, v0
	v_readfirstlane_b32 m0, v0
	s_sendmsg sendmsg(MSG_INTERRUPT)
.LBB6_835:
	s_or_b64 exec, exec, s[14:15]
	s_branch .LBB6_837
.LBB6_836:
	s_branch .LBB6_841
.LBB6_837:                              ; =>This Inner Loop Header: Depth=1
	v_mov_b32_e32 v0, 1
	s_and_saveexec_b64 s[14:15], s[4:5]
	s_cbranch_execz .LBB6_839
; %bb.838:                              ;   in Loop: Header=BB6_837 Depth=1
	global_load_dword v0, v[8:9], off offset:20 glc
	s_waitcnt vmcnt(0)
	buffer_invl2
	buffer_wbinvl1_vol
	v_and_b32_e32 v0, 1, v0
.LBB6_839:                              ;   in Loop: Header=BB6_837 Depth=1
	s_or_b64 exec, exec, s[14:15]
	v_readfirstlane_b32 s14, v0
	s_cmp_eq_u32 s14, 0
	s_cbranch_scc1 .LBB6_836
; %bb.840:                              ;   in Loop: Header=BB6_837 Depth=1
	s_sleep 1
	s_cbranch_execnz .LBB6_837
.LBB6_841:
	global_load_dwordx2 v[0:1], v[10:11], off
	s_and_saveexec_b64 s[14:15], s[4:5]
	s_cbranch_execz .LBB6_844
; %bb.842:
	v_mov_b32_e32 v8, 0
	global_load_dwordx2 v[6:7], v8, s[6:7] offset:40
	global_load_dwordx2 v[10:11], v8, s[6:7] offset:24 glc
	global_load_dwordx2 v[12:13], v8, s[6:7]
	v_mov_b32_e32 v3, s9
	s_mov_b64 s[4:5], 0
	s_waitcnt vmcnt(2)
	v_add_co_u32_e32 v5, vcc, 1, v6
	v_addc_co_u32_e32 v9, vcc, 0, v7, vcc
	v_add_co_u32_e32 v2, vcc, s8, v5
	v_addc_co_u32_e32 v3, vcc, v9, v3, vcc
	v_cmp_eq_u64_e32 vcc, 0, v[2:3]
	v_cndmask_b32_e32 v3, v3, v9, vcc
	v_cndmask_b32_e32 v2, v2, v5, vcc
	v_and_b32_e32 v5, v3, v7
	v_and_b32_e32 v6, v2, v6
	v_mul_lo_u32 v5, v5, 24
	v_mul_hi_u32 v7, v6, 24
	v_mul_lo_u32 v6, v6, 24
	v_add_u32_e32 v5, v7, v5
	s_waitcnt vmcnt(0)
	v_add_co_u32_e32 v6, vcc, v12, v6
	v_addc_co_u32_e32 v7, vcc, v13, v5, vcc
	v_mov_b32_e32 v4, v10
	global_store_dwordx2 v[6:7], v[10:11], off
	v_mov_b32_e32 v5, v11
	buffer_wbl2
	s_waitcnt vmcnt(0)
	global_atomic_cmpswap_x2 v[4:5], v8, v[2:5], s[6:7] offset:24 glc
	s_waitcnt vmcnt(0)
	v_cmp_ne_u64_e32 vcc, v[4:5], v[10:11]
	s_and_b64 exec, exec, vcc
	s_cbranch_execz .LBB6_844
.LBB6_843:                              ; =>This Inner Loop Header: Depth=1
	s_sleep 1
	global_store_dwordx2 v[6:7], v[4:5], off
	buffer_wbl2
	s_waitcnt vmcnt(0)
	global_atomic_cmpswap_x2 v[10:11], v8, v[2:5], s[6:7] offset:24 glc
	s_waitcnt vmcnt(0)
	v_cmp_eq_u64_e32 vcc, v[10:11], v[4:5]
	s_or_b64 s[4:5], vcc, s[4:5]
	v_pk_mov_b32 v[4:5], v[10:11], v[10:11] op_sel:[0,1]
	s_andn2_b64 exec, exec, s[4:5]
	s_cbranch_execnz .LBB6_843
.LBB6_844:
	s_or_b64 exec, exec, s[14:15]
	s_getpc_b64 s[8:9]
	s_add_u32 s8, s8, .str.28@rel32@lo+4
	s_addc_u32 s9, s9, .str.28@rel32@hi+12
	s_cmp_lg_u64 s[8:9], 0
	s_cbranch_scc0 .LBB6_936
; %bb.845:
	s_waitcnt vmcnt(0)
	v_and_b32_e32 v6, -3, v0
	v_mov_b32_e32 v7, v1
	s_mov_b64 s[14:15], 35
	v_mov_b32_e32 v27, 0
	v_mov_b32_e32 v4, 2
	;; [unrolled: 1-line block ×3, first 2 shown]
	s_branch .LBB6_847
.LBB6_846:                              ;   in Loop: Header=BB6_847 Depth=1
	s_or_b64 exec, exec, s[20:21]
	s_sub_u32 s14, s14, s16
	s_subb_u32 s15, s15, s17
	s_add_u32 s8, s8, s16
	s_addc_u32 s9, s9, s17
	s_cmp_lg_u64 s[14:15], 0
	s_cbranch_scc0 .LBB6_935
.LBB6_847:                              ; =>This Loop Header: Depth=1
                                        ;     Child Loop BB6_850 Depth 2
                                        ;     Child Loop BB6_858 Depth 2
	;; [unrolled: 1-line block ×11, first 2 shown]
	v_cmp_lt_u64_e64 s[4:5], s[14:15], 56
	s_and_b64 s[4:5], s[4:5], exec
	v_cmp_gt_u64_e64 s[4:5], s[14:15], 7
	s_cselect_b32 s17, s15, 0
	s_cselect_b32 s16, s14, 56
	s_and_b64 vcc, exec, s[4:5]
	s_cbranch_vccnz .LBB6_852
; %bb.848:                              ;   in Loop: Header=BB6_847 Depth=1
	s_mov_b64 s[4:5], 0
	s_cmp_eq_u64 s[14:15], 0
	s_waitcnt vmcnt(0)
	v_pk_mov_b32 v[8:9], 0, 0
	s_cbranch_scc1 .LBB6_851
; %bb.849:                              ;   in Loop: Header=BB6_847 Depth=1
	s_lshl_b64 s[18:19], s[16:17], 3
	s_mov_b64 s[20:21], 0
	v_pk_mov_b32 v[8:9], 0, 0
	s_mov_b64 s[22:23], s[8:9]
.LBB6_850:                              ;   Parent Loop BB6_847 Depth=1
                                        ; =>  This Inner Loop Header: Depth=2
	global_load_ubyte v2, v27, s[22:23]
	s_waitcnt vmcnt(0)
	v_and_b32_e32 v26, 0xffff, v2
	v_lshlrev_b64 v[2:3], s20, v[26:27]
	s_add_u32 s20, s20, 8
	s_addc_u32 s21, s21, 0
	s_add_u32 s22, s22, 1
	s_addc_u32 s23, s23, 0
	v_or_b32_e32 v8, v2, v8
	s_cmp_lg_u32 s18, s20
	v_or_b32_e32 v9, v3, v9
	s_cbranch_scc1 .LBB6_850
.LBB6_851:                              ;   in Loop: Header=BB6_847 Depth=1
	s_mov_b32 s22, 0
	s_branch .LBB6_853
.LBB6_852:                              ;   in Loop: Header=BB6_847 Depth=1
	s_mov_b64 s[4:5], -1
                                        ; implicit-def: $sgpr22
.LBB6_853:                              ;   in Loop: Header=BB6_847 Depth=1
	s_andn2_b64 vcc, exec, s[4:5]
	s_mov_b64 s[4:5], s[8:9]
	s_cbranch_vccnz .LBB6_855
; %bb.854:                              ;   in Loop: Header=BB6_847 Depth=1
	global_load_dwordx2 v[8:9], v27, s[8:9]
	s_add_i32 s22, s16, -8
	s_add_u32 s4, s8, 8
	s_addc_u32 s5, s9, 0
.LBB6_855:                              ;   in Loop: Header=BB6_847 Depth=1
	s_cmp_gt_u32 s22, 7
	s_cbranch_scc1 .LBB6_859
; %bb.856:                              ;   in Loop: Header=BB6_847 Depth=1
	s_cmp_eq_u32 s22, 0
	s_cbranch_scc1 .LBB6_860
; %bb.857:                              ;   in Loop: Header=BB6_847 Depth=1
	s_mov_b64 s[18:19], 0
	v_pk_mov_b32 v[10:11], 0, 0
	s_mov_b64 s[20:21], 0
.LBB6_858:                              ;   Parent Loop BB6_847 Depth=1
                                        ; =>  This Inner Loop Header: Depth=2
	s_add_u32 s24, s4, s20
	s_addc_u32 s25, s5, s21
	global_load_ubyte v2, v27, s[24:25]
	s_add_u32 s20, s20, 1
	s_addc_u32 s21, s21, 0
	s_waitcnt vmcnt(0)
	v_and_b32_e32 v26, 0xffff, v2
	v_lshlrev_b64 v[2:3], s18, v[26:27]
	s_add_u32 s18, s18, 8
	s_addc_u32 s19, s19, 0
	v_or_b32_e32 v10, v2, v10
	s_cmp_lg_u32 s22, s20
	v_or_b32_e32 v11, v3, v11
	s_cbranch_scc1 .LBB6_858
	s_branch .LBB6_861
.LBB6_859:                              ;   in Loop: Header=BB6_847 Depth=1
	s_mov_b64 s[18:19], -1
                                        ; implicit-def: $vgpr10_vgpr11
                                        ; implicit-def: $sgpr23
	s_branch .LBB6_862
.LBB6_860:                              ;   in Loop: Header=BB6_847 Depth=1
	v_pk_mov_b32 v[10:11], 0, 0
.LBB6_861:                              ;   in Loop: Header=BB6_847 Depth=1
	s_mov_b64 s[18:19], 0
	s_mov_b32 s23, 0
.LBB6_862:                              ;   in Loop: Header=BB6_847 Depth=1
	s_andn2_b64 vcc, exec, s[18:19]
	s_cbranch_vccnz .LBB6_864
; %bb.863:                              ;   in Loop: Header=BB6_847 Depth=1
	global_load_dwordx2 v[10:11], v27, s[4:5]
	s_add_i32 s23, s22, -8
	s_add_u32 s4, s4, 8
	s_addc_u32 s5, s5, 0
.LBB6_864:                              ;   in Loop: Header=BB6_847 Depth=1
	s_cmp_gt_u32 s23, 7
	s_cbranch_scc1 .LBB6_868
; %bb.865:                              ;   in Loop: Header=BB6_847 Depth=1
	s_cmp_eq_u32 s23, 0
	s_cbranch_scc1 .LBB6_869
; %bb.866:                              ;   in Loop: Header=BB6_847 Depth=1
	s_mov_b64 s[18:19], 0
	v_pk_mov_b32 v[12:13], 0, 0
	s_mov_b64 s[20:21], 0
.LBB6_867:                              ;   Parent Loop BB6_847 Depth=1
                                        ; =>  This Inner Loop Header: Depth=2
	s_add_u32 s24, s4, s20
	s_addc_u32 s25, s5, s21
	global_load_ubyte v2, v27, s[24:25]
	s_add_u32 s20, s20, 1
	s_addc_u32 s21, s21, 0
	s_waitcnt vmcnt(0)
	v_and_b32_e32 v26, 0xffff, v2
	v_lshlrev_b64 v[2:3], s18, v[26:27]
	s_add_u32 s18, s18, 8
	s_addc_u32 s19, s19, 0
	v_or_b32_e32 v12, v2, v12
	s_cmp_lg_u32 s23, s20
	v_or_b32_e32 v13, v3, v13
	s_cbranch_scc1 .LBB6_867
	s_branch .LBB6_870
.LBB6_868:                              ;   in Loop: Header=BB6_847 Depth=1
	s_mov_b64 s[18:19], -1
                                        ; implicit-def: $sgpr22
	s_branch .LBB6_871
.LBB6_869:                              ;   in Loop: Header=BB6_847 Depth=1
	v_pk_mov_b32 v[12:13], 0, 0
.LBB6_870:                              ;   in Loop: Header=BB6_847 Depth=1
	s_mov_b64 s[18:19], 0
	s_mov_b32 s22, 0
.LBB6_871:                              ;   in Loop: Header=BB6_847 Depth=1
	s_andn2_b64 vcc, exec, s[18:19]
	s_cbranch_vccnz .LBB6_873
; %bb.872:                              ;   in Loop: Header=BB6_847 Depth=1
	global_load_dwordx2 v[12:13], v27, s[4:5]
	s_add_i32 s22, s23, -8
	s_add_u32 s4, s4, 8
	s_addc_u32 s5, s5, 0
.LBB6_873:                              ;   in Loop: Header=BB6_847 Depth=1
	s_cmp_gt_u32 s22, 7
	s_cbranch_scc1 .LBB6_877
; %bb.874:                              ;   in Loop: Header=BB6_847 Depth=1
	s_cmp_eq_u32 s22, 0
	s_cbranch_scc1 .LBB6_878
; %bb.875:                              ;   in Loop: Header=BB6_847 Depth=1
	s_mov_b64 s[18:19], 0
	v_pk_mov_b32 v[14:15], 0, 0
	s_mov_b64 s[20:21], 0
.LBB6_876:                              ;   Parent Loop BB6_847 Depth=1
                                        ; =>  This Inner Loop Header: Depth=2
	s_add_u32 s24, s4, s20
	s_addc_u32 s25, s5, s21
	global_load_ubyte v2, v27, s[24:25]
	s_add_u32 s20, s20, 1
	s_addc_u32 s21, s21, 0
	s_waitcnt vmcnt(0)
	v_and_b32_e32 v26, 0xffff, v2
	v_lshlrev_b64 v[2:3], s18, v[26:27]
	s_add_u32 s18, s18, 8
	s_addc_u32 s19, s19, 0
	v_or_b32_e32 v14, v2, v14
	s_cmp_lg_u32 s22, s20
	v_or_b32_e32 v15, v3, v15
	s_cbranch_scc1 .LBB6_876
	s_branch .LBB6_879
.LBB6_877:                              ;   in Loop: Header=BB6_847 Depth=1
	s_mov_b64 s[18:19], -1
                                        ; implicit-def: $vgpr14_vgpr15
                                        ; implicit-def: $sgpr23
	s_branch .LBB6_880
.LBB6_878:                              ;   in Loop: Header=BB6_847 Depth=1
	v_pk_mov_b32 v[14:15], 0, 0
.LBB6_879:                              ;   in Loop: Header=BB6_847 Depth=1
	s_mov_b64 s[18:19], 0
	s_mov_b32 s23, 0
.LBB6_880:                              ;   in Loop: Header=BB6_847 Depth=1
	s_andn2_b64 vcc, exec, s[18:19]
	s_cbranch_vccnz .LBB6_882
; %bb.881:                              ;   in Loop: Header=BB6_847 Depth=1
	global_load_dwordx2 v[14:15], v27, s[4:5]
	s_add_i32 s23, s22, -8
	s_add_u32 s4, s4, 8
	s_addc_u32 s5, s5, 0
.LBB6_882:                              ;   in Loop: Header=BB6_847 Depth=1
	s_cmp_gt_u32 s23, 7
	s_cbranch_scc1 .LBB6_886
; %bb.883:                              ;   in Loop: Header=BB6_847 Depth=1
	s_cmp_eq_u32 s23, 0
	s_cbranch_scc1 .LBB6_887
; %bb.884:                              ;   in Loop: Header=BB6_847 Depth=1
	s_mov_b64 s[18:19], 0
	v_pk_mov_b32 v[16:17], 0, 0
	s_mov_b64 s[20:21], 0
.LBB6_885:                              ;   Parent Loop BB6_847 Depth=1
                                        ; =>  This Inner Loop Header: Depth=2
	s_add_u32 s24, s4, s20
	s_addc_u32 s25, s5, s21
	global_load_ubyte v2, v27, s[24:25]
	s_add_u32 s20, s20, 1
	s_addc_u32 s21, s21, 0
	s_waitcnt vmcnt(0)
	v_and_b32_e32 v26, 0xffff, v2
	v_lshlrev_b64 v[2:3], s18, v[26:27]
	s_add_u32 s18, s18, 8
	s_addc_u32 s19, s19, 0
	v_or_b32_e32 v16, v2, v16
	s_cmp_lg_u32 s23, s20
	v_or_b32_e32 v17, v3, v17
	s_cbranch_scc1 .LBB6_885
	s_branch .LBB6_888
.LBB6_886:                              ;   in Loop: Header=BB6_847 Depth=1
	s_mov_b64 s[18:19], -1
                                        ; implicit-def: $sgpr22
	s_branch .LBB6_889
.LBB6_887:                              ;   in Loop: Header=BB6_847 Depth=1
	v_pk_mov_b32 v[16:17], 0, 0
.LBB6_888:                              ;   in Loop: Header=BB6_847 Depth=1
	s_mov_b64 s[18:19], 0
	s_mov_b32 s22, 0
.LBB6_889:                              ;   in Loop: Header=BB6_847 Depth=1
	s_andn2_b64 vcc, exec, s[18:19]
	s_cbranch_vccnz .LBB6_891
; %bb.890:                              ;   in Loop: Header=BB6_847 Depth=1
	global_load_dwordx2 v[16:17], v27, s[4:5]
	s_add_i32 s22, s23, -8
	s_add_u32 s4, s4, 8
	s_addc_u32 s5, s5, 0
.LBB6_891:                              ;   in Loop: Header=BB6_847 Depth=1
	s_cmp_gt_u32 s22, 7
	s_cbranch_scc1 .LBB6_895
; %bb.892:                              ;   in Loop: Header=BB6_847 Depth=1
	s_cmp_eq_u32 s22, 0
	s_cbranch_scc1 .LBB6_896
; %bb.893:                              ;   in Loop: Header=BB6_847 Depth=1
	s_mov_b64 s[18:19], 0
	v_pk_mov_b32 v[18:19], 0, 0
	s_mov_b64 s[20:21], 0
.LBB6_894:                              ;   Parent Loop BB6_847 Depth=1
                                        ; =>  This Inner Loop Header: Depth=2
	s_add_u32 s24, s4, s20
	s_addc_u32 s25, s5, s21
	global_load_ubyte v2, v27, s[24:25]
	s_add_u32 s20, s20, 1
	s_addc_u32 s21, s21, 0
	s_waitcnt vmcnt(0)
	v_and_b32_e32 v26, 0xffff, v2
	v_lshlrev_b64 v[2:3], s18, v[26:27]
	s_add_u32 s18, s18, 8
	s_addc_u32 s19, s19, 0
	v_or_b32_e32 v18, v2, v18
	s_cmp_lg_u32 s22, s20
	v_or_b32_e32 v19, v3, v19
	s_cbranch_scc1 .LBB6_894
	s_branch .LBB6_897
.LBB6_895:                              ;   in Loop: Header=BB6_847 Depth=1
	s_mov_b64 s[18:19], -1
                                        ; implicit-def: $vgpr18_vgpr19
                                        ; implicit-def: $sgpr23
	s_branch .LBB6_898
.LBB6_896:                              ;   in Loop: Header=BB6_847 Depth=1
	v_pk_mov_b32 v[18:19], 0, 0
.LBB6_897:                              ;   in Loop: Header=BB6_847 Depth=1
	s_mov_b64 s[18:19], 0
	s_mov_b32 s23, 0
.LBB6_898:                              ;   in Loop: Header=BB6_847 Depth=1
	s_andn2_b64 vcc, exec, s[18:19]
	s_cbranch_vccnz .LBB6_900
; %bb.899:                              ;   in Loop: Header=BB6_847 Depth=1
	global_load_dwordx2 v[18:19], v27, s[4:5]
	s_add_i32 s23, s22, -8
	s_add_u32 s4, s4, 8
	s_addc_u32 s5, s5, 0
.LBB6_900:                              ;   in Loop: Header=BB6_847 Depth=1
	s_cmp_gt_u32 s23, 7
	s_cbranch_scc1 .LBB6_904
; %bb.901:                              ;   in Loop: Header=BB6_847 Depth=1
	s_cmp_eq_u32 s23, 0
	s_cbranch_scc1 .LBB6_905
; %bb.902:                              ;   in Loop: Header=BB6_847 Depth=1
	s_mov_b64 s[18:19], 0
	v_pk_mov_b32 v[20:21], 0, 0
	s_mov_b64 s[20:21], s[4:5]
.LBB6_903:                              ;   Parent Loop BB6_847 Depth=1
                                        ; =>  This Inner Loop Header: Depth=2
	global_load_ubyte v2, v27, s[20:21]
	s_add_i32 s23, s23, -1
	s_waitcnt vmcnt(0)
	v_and_b32_e32 v26, 0xffff, v2
	v_lshlrev_b64 v[2:3], s18, v[26:27]
	s_add_u32 s18, s18, 8
	s_addc_u32 s19, s19, 0
	s_add_u32 s20, s20, 1
	s_addc_u32 s21, s21, 0
	v_or_b32_e32 v20, v2, v20
	s_cmp_lg_u32 s23, 0
	v_or_b32_e32 v21, v3, v21
	s_cbranch_scc1 .LBB6_903
	s_branch .LBB6_906
.LBB6_904:                              ;   in Loop: Header=BB6_847 Depth=1
	s_mov_b64 s[18:19], -1
	s_branch .LBB6_907
.LBB6_905:                              ;   in Loop: Header=BB6_847 Depth=1
	v_pk_mov_b32 v[20:21], 0, 0
.LBB6_906:                              ;   in Loop: Header=BB6_847 Depth=1
	s_mov_b64 s[18:19], 0
.LBB6_907:                              ;   in Loop: Header=BB6_847 Depth=1
	s_andn2_b64 vcc, exec, s[18:19]
	s_cbranch_vccnz .LBB6_909
; %bb.908:                              ;   in Loop: Header=BB6_847 Depth=1
	global_load_dwordx2 v[20:21], v27, s[4:5]
.LBB6_909:                              ;   in Loop: Header=BB6_847 Depth=1
	v_readfirstlane_b32 s4, v31
	v_cmp_eq_u32_e64 s[4:5], s4, v31
	v_pk_mov_b32 v[2:3], 0, 0
	s_and_saveexec_b64 s[18:19], s[4:5]
	s_cbranch_execz .LBB6_915
; %bb.910:                              ;   in Loop: Header=BB6_847 Depth=1
	global_load_dwordx2 v[24:25], v27, s[6:7] offset:24 glc
	s_waitcnt vmcnt(0)
	buffer_invl2
	buffer_wbinvl1_vol
	global_load_dwordx2 v[2:3], v27, s[6:7] offset:40
	global_load_dwordx2 v[22:23], v27, s[6:7]
	s_waitcnt vmcnt(1)
	v_and_b32_e32 v2, v2, v24
	v_and_b32_e32 v3, v3, v25
	v_mul_lo_u32 v3, v3, 24
	v_mul_hi_u32 v26, v2, 24
	v_mul_lo_u32 v2, v2, 24
	v_add_u32_e32 v3, v26, v3
	s_waitcnt vmcnt(0)
	v_add_co_u32_e32 v2, vcc, v22, v2
	v_addc_co_u32_e32 v3, vcc, v23, v3, vcc
	global_load_dwordx2 v[22:23], v[2:3], off glc
	s_waitcnt vmcnt(0)
	global_atomic_cmpswap_x2 v[2:3], v27, v[22:25], s[6:7] offset:24 glc
	s_waitcnt vmcnt(0)
	buffer_invl2
	buffer_wbinvl1_vol
	v_cmp_ne_u64_e32 vcc, v[2:3], v[24:25]
	s_and_saveexec_b64 s[20:21], vcc
	s_cbranch_execz .LBB6_914
; %bb.911:                              ;   in Loop: Header=BB6_847 Depth=1
	s_mov_b64 s[22:23], 0
.LBB6_912:                              ;   Parent Loop BB6_847 Depth=1
                                        ; =>  This Inner Loop Header: Depth=2
	s_sleep 1
	global_load_dwordx2 v[22:23], v27, s[6:7] offset:40
	global_load_dwordx2 v[28:29], v27, s[6:7]
	v_pk_mov_b32 v[24:25], v[2:3], v[2:3] op_sel:[0,1]
	s_waitcnt vmcnt(1)
	v_and_b32_e32 v2, v22, v24
	s_waitcnt vmcnt(0)
	v_mad_u64_u32 v[2:3], s[24:25], v2, 24, v[28:29]
	v_and_b32_e32 v23, v23, v25
	v_mov_b32_e32 v22, v3
	v_mad_u64_u32 v[22:23], s[24:25], v23, 24, v[22:23]
	v_mov_b32_e32 v3, v22
	global_load_dwordx2 v[22:23], v[2:3], off glc
	s_waitcnt vmcnt(0)
	global_atomic_cmpswap_x2 v[2:3], v27, v[22:25], s[6:7] offset:24 glc
	s_waitcnt vmcnt(0)
	buffer_invl2
	buffer_wbinvl1_vol
	v_cmp_eq_u64_e32 vcc, v[2:3], v[24:25]
	s_or_b64 s[22:23], vcc, s[22:23]
	s_andn2_b64 exec, exec, s[22:23]
	s_cbranch_execnz .LBB6_912
; %bb.913:                              ;   in Loop: Header=BB6_847 Depth=1
	s_or_b64 exec, exec, s[22:23]
.LBB6_914:                              ;   in Loop: Header=BB6_847 Depth=1
	s_or_b64 exec, exec, s[20:21]
.LBB6_915:                              ;   in Loop: Header=BB6_847 Depth=1
	s_or_b64 exec, exec, s[18:19]
	global_load_dwordx2 v[28:29], v27, s[6:7] offset:40
	global_load_dwordx4 v[22:25], v27, s[6:7]
	v_readfirstlane_b32 s18, v2
	v_readfirstlane_b32 s19, v3
	s_mov_b64 s[20:21], exec
	s_waitcnt vmcnt(1)
	v_readfirstlane_b32 s22, v28
	v_readfirstlane_b32 s23, v29
	s_and_b64 s[22:23], s[18:19], s[22:23]
	s_mul_i32 s24, s23, 24
	s_mul_hi_u32 s25, s22, 24
	s_mul_i32 vcc_lo, s22, 24
	s_add_i32 s24, s25, s24
	v_mov_b32_e32 v2, s24
	s_waitcnt vmcnt(0)
	v_add_co_u32_e32 v28, vcc, vcc_lo, v22
	v_addc_co_u32_e32 v29, vcc, v23, v2, vcc
	s_and_saveexec_b64 s[24:25], s[4:5]
	s_cbranch_execz .LBB6_917
; %bb.916:                              ;   in Loop: Header=BB6_847 Depth=1
	v_pk_mov_b32 v[2:3], s[20:21], s[20:21] op_sel:[0,1]
	global_store_dwordx4 v[28:29], v[2:5], off offset:8
.LBB6_917:                              ;   in Loop: Header=BB6_847 Depth=1
	s_or_b64 exec, exec, s[24:25]
	s_lshl_b64 s[20:21], s[22:23], 12
	v_mov_b32_e32 v3, s21
	v_add_co_u32_e32 v2, vcc, s20, v24
	v_addc_co_u32_e32 v3, vcc, v25, v3, vcc
	v_or_b32_e32 v24, 2, v6
	v_cmp_gt_u64_e64 vcc, s[14:15], 56
	s_lshl_b32 s20, s16, 2
	v_cndmask_b32_e32 v6, v24, v6, vcc
	s_add_i32 s20, s20, 28
	s_and_b32 s20, s20, 0x1e0
	v_and_b32_e32 v6, 0xffffff1f, v6
	v_or_b32_e32 v6, s20, v6
	v_readfirstlane_b32 s20, v2
	v_readfirstlane_b32 s21, v3
	s_nop 4
	global_store_dwordx4 v30, v[6:9], s[20:21]
	global_store_dwordx4 v30, v[10:13], s[20:21] offset:16
	global_store_dwordx4 v30, v[14:17], s[20:21] offset:32
	;; [unrolled: 1-line block ×3, first 2 shown]
	s_and_saveexec_b64 s[20:21], s[4:5]
	s_cbranch_execz .LBB6_925
; %bb.918:                              ;   in Loop: Header=BB6_847 Depth=1
	global_load_dwordx2 v[14:15], v27, s[6:7] offset:32 glc
	global_load_dwordx2 v[6:7], v27, s[6:7] offset:40
	v_mov_b32_e32 v12, s18
	v_mov_b32_e32 v13, s19
	s_waitcnt vmcnt(0)
	v_readfirstlane_b32 s22, v6
	v_readfirstlane_b32 s23, v7
	s_and_b64 s[22:23], s[22:23], s[18:19]
	s_mul_i32 s23, s23, 24
	s_mul_hi_u32 s24, s22, 24
	s_mul_i32 s22, s22, 24
	s_add_i32 s23, s24, s23
	v_mov_b32_e32 v6, s23
	v_add_co_u32_e32 v10, vcc, s22, v22
	v_addc_co_u32_e32 v11, vcc, v23, v6, vcc
	global_store_dwordx2 v[10:11], v[14:15], off
	buffer_wbl2
	s_waitcnt vmcnt(0)
	global_atomic_cmpswap_x2 v[8:9], v27, v[12:15], s[6:7] offset:32 glc
	s_waitcnt vmcnt(0)
	v_cmp_ne_u64_e32 vcc, v[8:9], v[14:15]
	s_and_saveexec_b64 s[22:23], vcc
	s_cbranch_execz .LBB6_921
; %bb.919:                              ;   in Loop: Header=BB6_847 Depth=1
	s_mov_b64 s[24:25], 0
.LBB6_920:                              ;   Parent Loop BB6_847 Depth=1
                                        ; =>  This Inner Loop Header: Depth=2
	s_sleep 1
	global_store_dwordx2 v[10:11], v[8:9], off
	v_mov_b32_e32 v6, s18
	v_mov_b32_e32 v7, s19
	buffer_wbl2
	s_waitcnt vmcnt(0)
	global_atomic_cmpswap_x2 v[6:7], v27, v[6:9], s[6:7] offset:32 glc
	s_waitcnt vmcnt(0)
	v_cmp_eq_u64_e32 vcc, v[6:7], v[8:9]
	s_or_b64 s[24:25], vcc, s[24:25]
	v_pk_mov_b32 v[8:9], v[6:7], v[6:7] op_sel:[0,1]
	s_andn2_b64 exec, exec, s[24:25]
	s_cbranch_execnz .LBB6_920
.LBB6_921:                              ;   in Loop: Header=BB6_847 Depth=1
	s_or_b64 exec, exec, s[22:23]
	global_load_dwordx2 v[6:7], v27, s[6:7] offset:16
	s_mov_b64 s[24:25], exec
	v_mbcnt_lo_u32_b32 v8, s24, 0
	v_mbcnt_hi_u32_b32 v8, s25, v8
	v_cmp_eq_u32_e32 vcc, 0, v8
	s_and_saveexec_b64 s[22:23], vcc
	s_cbranch_execz .LBB6_923
; %bb.922:                              ;   in Loop: Header=BB6_847 Depth=1
	s_bcnt1_i32_b64 s24, s[24:25]
	v_mov_b32_e32 v26, s24
	buffer_wbl2
	s_waitcnt vmcnt(0)
	global_atomic_add_x2 v[6:7], v[26:27], off offset:8
.LBB6_923:                              ;   in Loop: Header=BB6_847 Depth=1
	s_or_b64 exec, exec, s[22:23]
	s_waitcnt vmcnt(0)
	global_load_dwordx2 v[8:9], v[6:7], off offset:16
	s_waitcnt vmcnt(0)
	v_cmp_eq_u64_e32 vcc, 0, v[8:9]
	s_cbranch_vccnz .LBB6_925
; %bb.924:                              ;   in Loop: Header=BB6_847 Depth=1
	global_load_dword v26, v[6:7], off offset:24
	s_waitcnt vmcnt(0)
	v_and_b32_e32 v6, 0xffffff, v26
	v_readfirstlane_b32 m0, v6
	buffer_wbl2
	global_store_dwordx2 v[8:9], v[26:27], off
	s_sendmsg sendmsg(MSG_INTERRUPT)
.LBB6_925:                              ;   in Loop: Header=BB6_847 Depth=1
	s_or_b64 exec, exec, s[20:21]
	v_add_co_u32_e32 v2, vcc, v2, v30
	v_addc_co_u32_e32 v3, vcc, 0, v3, vcc
	s_branch .LBB6_927
.LBB6_926:                              ;   in Loop: Header=BB6_847 Depth=1
	s_branch .LBB6_931
.LBB6_927:                              ;   Parent Loop BB6_847 Depth=1
                                        ; =>  This Inner Loop Header: Depth=2
	v_mov_b32_e32 v6, 1
	s_and_saveexec_b64 s[20:21], s[4:5]
	s_cbranch_execz .LBB6_929
; %bb.928:                              ;   in Loop: Header=BB6_927 Depth=2
	global_load_dword v6, v[28:29], off offset:20 glc
	s_waitcnt vmcnt(0)
	buffer_invl2
	buffer_wbinvl1_vol
	v_and_b32_e32 v6, 1, v6
.LBB6_929:                              ;   in Loop: Header=BB6_927 Depth=2
	s_or_b64 exec, exec, s[20:21]
	v_readfirstlane_b32 s20, v6
	s_cmp_eq_u32 s20, 0
	s_cbranch_scc1 .LBB6_926
; %bb.930:                              ;   in Loop: Header=BB6_927 Depth=2
	s_sleep 1
	s_cbranch_execnz .LBB6_927
.LBB6_931:                              ;   in Loop: Header=BB6_847 Depth=1
	global_load_dwordx4 v[6:9], v[2:3], off
	s_and_saveexec_b64 s[20:21], s[4:5]
	s_cbranch_execz .LBB6_846
; %bb.932:                              ;   in Loop: Header=BB6_847 Depth=1
	global_load_dwordx2 v[2:3], v27, s[6:7] offset:40
	global_load_dwordx2 v[12:13], v27, s[6:7] offset:24 glc
	global_load_dwordx2 v[14:15], v27, s[6:7]
	s_waitcnt vmcnt(3)
	v_mov_b32_e32 v9, s19
	s_waitcnt vmcnt(2)
	v_add_co_u32_e32 v11, vcc, 1, v2
	v_addc_co_u32_e32 v16, vcc, 0, v3, vcc
	v_add_co_u32_e32 v8, vcc, s18, v11
	v_addc_co_u32_e32 v9, vcc, v16, v9, vcc
	v_cmp_eq_u64_e32 vcc, 0, v[8:9]
	v_cndmask_b32_e32 v9, v9, v16, vcc
	v_cndmask_b32_e32 v8, v8, v11, vcc
	v_and_b32_e32 v3, v9, v3
	v_and_b32_e32 v2, v8, v2
	v_mul_lo_u32 v3, v3, 24
	v_mul_hi_u32 v11, v2, 24
	v_mul_lo_u32 v2, v2, 24
	v_add_u32_e32 v3, v11, v3
	s_waitcnt vmcnt(0)
	v_add_co_u32_e32 v2, vcc, v14, v2
	v_addc_co_u32_e32 v3, vcc, v15, v3, vcc
	v_mov_b32_e32 v10, v12
	global_store_dwordx2 v[2:3], v[12:13], off
	v_mov_b32_e32 v11, v13
	buffer_wbl2
	s_waitcnt vmcnt(0)
	global_atomic_cmpswap_x2 v[10:11], v27, v[8:11], s[6:7] offset:24 glc
	s_waitcnt vmcnt(0)
	v_cmp_ne_u64_e32 vcc, v[10:11], v[12:13]
	s_and_b64 exec, exec, vcc
	s_cbranch_execz .LBB6_846
; %bb.933:                              ;   in Loop: Header=BB6_847 Depth=1
	s_mov_b64 s[4:5], 0
.LBB6_934:                              ;   Parent Loop BB6_847 Depth=1
                                        ; =>  This Inner Loop Header: Depth=2
	s_sleep 1
	global_store_dwordx2 v[2:3], v[10:11], off
	buffer_wbl2
	s_waitcnt vmcnt(0)
	global_atomic_cmpswap_x2 v[12:13], v27, v[8:11], s[6:7] offset:24 glc
	s_waitcnt vmcnt(0)
	v_cmp_eq_u64_e32 vcc, v[12:13], v[10:11]
	s_or_b64 s[4:5], vcc, s[4:5]
	v_pk_mov_b32 v[10:11], v[12:13], v[12:13] op_sel:[0,1]
	s_andn2_b64 exec, exec, s[4:5]
	s_cbranch_execnz .LBB6_934
	s_branch .LBB6_846
.LBB6_935:
	s_mov_b64 s[4:5], 0
	s_branch .LBB6_937
.LBB6_936:
	s_mov_b64 s[4:5], -1
.LBB6_937:
	s_mov_b64 s[44:45], s[12:13]
	s_mov_b64 s[72:73], s[10:11]
	s_and_b64 vcc, exec, s[4:5]
	s_cbranch_vccz .LBB6_964
; %bb.938:
	v_readfirstlane_b32 s4, v31
	v_cmp_eq_u32_e64 s[4:5], s4, v31
	s_waitcnt vmcnt(0)
	v_pk_mov_b32 v[8:9], 0, 0
	s_and_saveexec_b64 s[8:9], s[4:5]
	s_cbranch_execz .LBB6_944
; %bb.939:
	v_mov_b32_e32 v2, 0
	global_load_dwordx2 v[6:7], v2, s[6:7] offset:24 glc
	s_waitcnt vmcnt(0)
	buffer_invl2
	buffer_wbinvl1_vol
	global_load_dwordx2 v[4:5], v2, s[6:7] offset:40
	global_load_dwordx2 v[8:9], v2, s[6:7]
	s_waitcnt vmcnt(1)
	v_and_b32_e32 v3, v4, v6
	v_and_b32_e32 v4, v5, v7
	v_mul_lo_u32 v4, v4, 24
	v_mul_hi_u32 v5, v3, 24
	v_mul_lo_u32 v3, v3, 24
	v_add_u32_e32 v5, v5, v4
	s_waitcnt vmcnt(0)
	v_add_co_u32_e32 v4, vcc, v8, v3
	v_addc_co_u32_e32 v5, vcc, v9, v5, vcc
	global_load_dwordx2 v[4:5], v[4:5], off glc
	s_waitcnt vmcnt(0)
	global_atomic_cmpswap_x2 v[8:9], v2, v[4:7], s[6:7] offset:24 glc
	s_waitcnt vmcnt(0)
	buffer_invl2
	buffer_wbinvl1_vol
	v_cmp_ne_u64_e32 vcc, v[8:9], v[6:7]
	s_and_saveexec_b64 s[10:11], vcc
	s_cbranch_execz .LBB6_943
; %bb.940:
	s_mov_b64 s[12:13], 0
.LBB6_941:                              ; =>This Inner Loop Header: Depth=1
	s_sleep 1
	global_load_dwordx2 v[4:5], v2, s[6:7] offset:40
	global_load_dwordx2 v[10:11], v2, s[6:7]
	v_pk_mov_b32 v[6:7], v[8:9], v[8:9] op_sel:[0,1]
	s_waitcnt vmcnt(1)
	v_and_b32_e32 v4, v4, v6
	v_and_b32_e32 v3, v5, v7
	s_waitcnt vmcnt(0)
	v_mad_u64_u32 v[4:5], s[14:15], v4, 24, v[10:11]
	v_mov_b32_e32 v8, v5
	v_mad_u64_u32 v[8:9], s[14:15], v3, 24, v[8:9]
	v_mov_b32_e32 v5, v8
	global_load_dwordx2 v[4:5], v[4:5], off glc
	s_waitcnt vmcnt(0)
	global_atomic_cmpswap_x2 v[8:9], v2, v[4:7], s[6:7] offset:24 glc
	s_waitcnt vmcnt(0)
	buffer_invl2
	buffer_wbinvl1_vol
	v_cmp_eq_u64_e32 vcc, v[8:9], v[6:7]
	s_or_b64 s[12:13], vcc, s[12:13]
	s_andn2_b64 exec, exec, s[12:13]
	s_cbranch_execnz .LBB6_941
; %bb.942:
	s_or_b64 exec, exec, s[12:13]
.LBB6_943:
	s_or_b64 exec, exec, s[10:11]
.LBB6_944:
	s_or_b64 exec, exec, s[8:9]
	v_mov_b32_e32 v2, 0
	global_load_dwordx2 v[10:11], v2, s[6:7] offset:40
	global_load_dwordx4 v[4:7], v2, s[6:7]
	v_readfirstlane_b32 s8, v8
	v_readfirstlane_b32 s9, v9
	s_mov_b64 s[10:11], exec
	s_waitcnt vmcnt(1)
	v_readfirstlane_b32 s12, v10
	v_readfirstlane_b32 s13, v11
	s_and_b64 s[12:13], s[8:9], s[12:13]
	s_mul_i32 s14, s13, 24
	s_mul_hi_u32 s15, s12, 24
	s_mul_i32 s16, s12, 24
	s_add_i32 s14, s15, s14
	v_mov_b32_e32 v3, s14
	s_waitcnt vmcnt(0)
	v_add_co_u32_e32 v8, vcc, s16, v4
	v_addc_co_u32_e32 v9, vcc, v5, v3, vcc
	s_and_saveexec_b64 s[14:15], s[4:5]
	s_cbranch_execz .LBB6_946
; %bb.945:
	v_pk_mov_b32 v[10:11], s[10:11], s[10:11] op_sel:[0,1]
	v_mov_b32_e32 v12, 2
	v_mov_b32_e32 v13, 1
	global_store_dwordx4 v[8:9], v[10:13], off offset:8
.LBB6_946:
	s_or_b64 exec, exec, s[14:15]
	s_lshl_b64 s[10:11], s[12:13], 12
	v_mov_b32_e32 v3, s11
	v_add_co_u32_e32 v6, vcc, s10, v6
	v_addc_co_u32_e32 v7, vcc, v7, v3, vcc
	s_movk_i32 s10, 0xff1d
	s_mov_b32 s12, 0
	v_and_or_b32 v0, v0, s10, 34
	v_mov_b32_e32 v3, v2
	v_readfirstlane_b32 s10, v6
	v_readfirstlane_b32 s11, v7
	s_mov_b32 s13, s12
	s_mov_b32 s14, s12
	s_mov_b32 s15, s12
	s_nop 1
	global_store_dwordx4 v30, v[0:3], s[10:11]
	s_nop 0
	v_pk_mov_b32 v[0:1], s[12:13], s[12:13] op_sel:[0,1]
	v_pk_mov_b32 v[2:3], s[14:15], s[14:15] op_sel:[0,1]
	global_store_dwordx4 v30, v[0:3], s[10:11] offset:16
	global_store_dwordx4 v30, v[0:3], s[10:11] offset:32
	;; [unrolled: 1-line block ×3, first 2 shown]
	s_and_saveexec_b64 s[10:11], s[4:5]
	s_cbranch_execz .LBB6_954
; %bb.947:
	v_mov_b32_e32 v6, 0
	global_load_dwordx2 v[12:13], v6, s[6:7] offset:32 glc
	global_load_dwordx2 v[0:1], v6, s[6:7] offset:40
	v_mov_b32_e32 v10, s8
	v_mov_b32_e32 v11, s9
	s_waitcnt vmcnt(0)
	v_readfirstlane_b32 s12, v0
	v_readfirstlane_b32 s13, v1
	s_and_b64 s[12:13], s[12:13], s[8:9]
	s_mul_i32 s13, s13, 24
	s_mul_hi_u32 s14, s12, 24
	s_mul_i32 s12, s12, 24
	s_add_i32 s13, s14, s13
	v_mov_b32_e32 v0, s13
	v_add_co_u32_e32 v4, vcc, s12, v4
	v_addc_co_u32_e32 v5, vcc, v5, v0, vcc
	global_store_dwordx2 v[4:5], v[12:13], off
	buffer_wbl2
	s_waitcnt vmcnt(0)
	global_atomic_cmpswap_x2 v[2:3], v6, v[10:13], s[6:7] offset:32 glc
	s_waitcnt vmcnt(0)
	v_cmp_ne_u64_e32 vcc, v[2:3], v[12:13]
	s_and_saveexec_b64 s[12:13], vcc
	s_cbranch_execz .LBB6_950
; %bb.948:
	s_mov_b64 s[14:15], 0
.LBB6_949:                              ; =>This Inner Loop Header: Depth=1
	s_sleep 1
	global_store_dwordx2 v[4:5], v[2:3], off
	v_mov_b32_e32 v0, s8
	v_mov_b32_e32 v1, s9
	buffer_wbl2
	s_waitcnt vmcnt(0)
	global_atomic_cmpswap_x2 v[0:1], v6, v[0:3], s[6:7] offset:32 glc
	s_waitcnt vmcnt(0)
	v_cmp_eq_u64_e32 vcc, v[0:1], v[2:3]
	s_or_b64 s[14:15], vcc, s[14:15]
	v_pk_mov_b32 v[2:3], v[0:1], v[0:1] op_sel:[0,1]
	s_andn2_b64 exec, exec, s[14:15]
	s_cbranch_execnz .LBB6_949
.LBB6_950:
	s_or_b64 exec, exec, s[12:13]
	v_mov_b32_e32 v3, 0
	global_load_dwordx2 v[0:1], v3, s[6:7] offset:16
	s_mov_b64 s[12:13], exec
	v_mbcnt_lo_u32_b32 v2, s12, 0
	v_mbcnt_hi_u32_b32 v2, s13, v2
	v_cmp_eq_u32_e32 vcc, 0, v2
	s_and_saveexec_b64 s[14:15], vcc
	s_cbranch_execz .LBB6_952
; %bb.951:
	s_bcnt1_i32_b64 s12, s[12:13]
	v_mov_b32_e32 v2, s12
	buffer_wbl2
	s_waitcnt vmcnt(0)
	global_atomic_add_x2 v[0:1], v[2:3], off offset:8
.LBB6_952:
	s_or_b64 exec, exec, s[14:15]
	s_waitcnt vmcnt(0)
	global_load_dwordx2 v[2:3], v[0:1], off offset:16
	s_waitcnt vmcnt(0)
	v_cmp_eq_u64_e32 vcc, 0, v[2:3]
	s_cbranch_vccnz .LBB6_954
; %bb.953:
	global_load_dword v0, v[0:1], off offset:24
	v_mov_b32_e32 v1, 0
	buffer_wbl2
	s_waitcnt vmcnt(0)
	global_store_dwordx2 v[2:3], v[0:1], off
	v_and_b32_e32 v0, 0xffffff, v0
	v_readfirstlane_b32 m0, v0
	s_sendmsg sendmsg(MSG_INTERRUPT)
.LBB6_954:
	s_or_b64 exec, exec, s[10:11]
	s_branch .LBB6_956
.LBB6_955:
	s_branch .LBB6_960
.LBB6_956:                              ; =>This Inner Loop Header: Depth=1
	v_mov_b32_e32 v0, 1
	s_and_saveexec_b64 s[10:11], s[4:5]
	s_cbranch_execz .LBB6_958
; %bb.957:                              ;   in Loop: Header=BB6_956 Depth=1
	global_load_dword v0, v[8:9], off offset:20 glc
	s_waitcnt vmcnt(0)
	buffer_invl2
	buffer_wbinvl1_vol
	v_and_b32_e32 v0, 1, v0
.LBB6_958:                              ;   in Loop: Header=BB6_956 Depth=1
	s_or_b64 exec, exec, s[10:11]
	v_readfirstlane_b32 s10, v0
	s_cmp_eq_u32 s10, 0
	s_cbranch_scc1 .LBB6_955
; %bb.959:                              ;   in Loop: Header=BB6_956 Depth=1
	s_sleep 1
	s_cbranch_execnz .LBB6_956
.LBB6_960:
	s_and_saveexec_b64 s[10:11], s[4:5]
	s_cbranch_execz .LBB6_963
; %bb.961:
	v_mov_b32_e32 v6, 0
	global_load_dwordx2 v[4:5], v6, s[6:7] offset:40
	global_load_dwordx2 v[8:9], v6, s[6:7] offset:24 glc
	global_load_dwordx2 v[10:11], v6, s[6:7]
	v_mov_b32_e32 v1, s9
	s_mov_b64 s[4:5], 0
	s_waitcnt vmcnt(2)
	v_add_co_u32_e32 v3, vcc, 1, v4
	v_addc_co_u32_e32 v7, vcc, 0, v5, vcc
	v_add_co_u32_e32 v0, vcc, s8, v3
	v_addc_co_u32_e32 v1, vcc, v7, v1, vcc
	v_cmp_eq_u64_e32 vcc, 0, v[0:1]
	v_cndmask_b32_e32 v1, v1, v7, vcc
	v_cndmask_b32_e32 v0, v0, v3, vcc
	v_and_b32_e32 v3, v1, v5
	v_and_b32_e32 v4, v0, v4
	v_mul_lo_u32 v3, v3, 24
	v_mul_hi_u32 v5, v4, 24
	v_mul_lo_u32 v4, v4, 24
	v_add_u32_e32 v3, v5, v3
	s_waitcnt vmcnt(0)
	v_add_co_u32_e32 v4, vcc, v10, v4
	v_addc_co_u32_e32 v5, vcc, v11, v3, vcc
	v_mov_b32_e32 v2, v8
	global_store_dwordx2 v[4:5], v[8:9], off
	v_mov_b32_e32 v3, v9
	buffer_wbl2
	s_waitcnt vmcnt(0)
	global_atomic_cmpswap_x2 v[2:3], v6, v[0:3], s[6:7] offset:24 glc
	s_waitcnt vmcnt(0)
	v_cmp_ne_u64_e32 vcc, v[2:3], v[8:9]
	s_and_b64 exec, exec, vcc
	s_cbranch_execz .LBB6_963
.LBB6_962:                              ; =>This Inner Loop Header: Depth=1
	s_sleep 1
	global_store_dwordx2 v[4:5], v[2:3], off
	buffer_wbl2
	s_waitcnt vmcnt(0)
	global_atomic_cmpswap_x2 v[8:9], v6, v[0:3], s[6:7] offset:24 glc
	s_waitcnt vmcnt(0)
	v_cmp_eq_u64_e32 vcc, v[8:9], v[2:3]
	s_or_b64 s[4:5], vcc, s[4:5]
	v_pk_mov_b32 v[2:3], v[8:9], v[8:9] op_sel:[0,1]
	s_andn2_b64 exec, exec, s[4:5]
	s_cbranch_execnz .LBB6_962
.LBB6_963:
	s_or_b64 exec, exec, s[10:11]
.LBB6_964:
	s_getpc_b64 s[4:5]
	s_add_u32 s4, s4, .str.29@rel32@lo+4
	s_addc_u32 s5, s5, .str.29@rel32@hi+12
	s_getpc_b64 s[6:7]
	s_add_u32 s6, s6, .str.19@rel32@lo+4
	s_addc_u32 s7, s7, .str.19@rel32@hi+12
	s_getpc_b64 s[10:11]
	s_add_u32 s10, s10, __PRETTY_FUNCTION__._ZN7VecsMemIjLi8192EE5fetchEi@rel32@lo+4
	s_addc_u32 s11, s11, __PRETTY_FUNCTION__._ZN7VecsMemIjLi8192EE5fetchEi@rel32@hi+12
	s_mov_b64 s[8:9], s[48:49]
	s_waitcnt vmcnt(0)
	v_mov_b32_e32 v0, s4
	v_mov_b32_e32 v1, s5
	;; [unrolled: 1-line block ×7, first 2 shown]
	s_getpc_b64 s[12:13]
	s_add_u32 s12, s12, __assert_fail@rel32@lo+4
	s_addc_u32 s13, s13, __assert_fail@rel32@hi+12
	s_swappc_b64 s[30:31], s[12:13]
	v_accvgpr_read_b32 v21, a1
	v_accvgpr_read_b32 v23, a3
	;; [unrolled: 1-line block ×3, first 2 shown]
	s_or_b64 s[4:5], s[68:69], exec
	s_mov_b64 s[10:11], s[72:73]
	s_mov_b64 s[12:13], s[44:45]
	v_accvgpr_read_b32 v20, a0
	v_accvgpr_read_b32 v22, a2
	;; [unrolled: 1-line block ×3, first 2 shown]
.LBB6_965:
	s_or_b64 exec, exec, s[42:43]
	s_andn2_b64 s[6:7], s[68:69], exec
	s_and_b64 s[4:5], s[4:5], exec
	s_or_b64 s[72:73], s[6:7], s[4:5]
	s_orn2_b64 s[6:7], s[40:41], exec
.LBB6_966:
	s_or_b64 exec, exec, s[38:39]
	s_mov_b64 s[4:5], 0
	s_mov_b64 s[8:9], s[10:11]
                                        ; implicit-def: $vgpr40
	s_and_saveexec_b64 s[74:75], s[6:7]
	s_cbranch_execz .LBB6_1539
; %bb.967:
	v_mov_b32_e32 v0, 0
	s_mov_b64 s[8:9], -1
	v_pk_mov_b32 v[46:47], 0, 0
	s_mov_b64 s[76:77], s[72:73]
	buffer_store_dword v43, off, s[0:3], s33 offset:124
	buffer_store_dword v42, off, s[0:3], s33 offset:120
	;; [unrolled: 1-line block ×3, first 2 shown]
	s_and_saveexec_b64 s[38:39], s[26:27]
	s_cbranch_execz .LBB6_1118
; %bb.968:
	flat_load_dword v0, v[22:23]
	s_movk_i32 s4, 0x2001
	s_mov_b64 s[26:27], 0
	v_pk_mov_b32 v[46:47], 0, 0
	s_waitcnt vmcnt(0) lgkmcnt(0)
	v_add_u32_e32 v0, v0, v44
	v_cmp_gt_i32_e32 vcc, s4, v0
	s_and_saveexec_b64 s[4:5], vcc
	s_xor_b64 s[4:5], exec, s[4:5]
	s_cbranch_execz .LBB6_970
; %bb.969:
	v_ashrrev_i32_e32 v1, 31, v0
	flat_store_dword v[22:23], v0
	v_lshlrev_b64 v[0:1], 2, v[0:1]
	v_add_co_u32_e32 v2, vcc, v22, v0
	v_mov_b32_e32 v45, 0
	v_addc_co_u32_e32 v3, vcc, v23, v1, vcc
	v_lshlrev_b64 v[0:1], 2, v[44:45]
	v_sub_co_u32_e32 v0, vcc, v2, v0
	v_subb_co_u32_e32 v1, vcc, v3, v1, vcc
	v_add_co_u32_e32 v46, vcc, 4, v0
	s_mov_b64 s[26:27], exec
	v_addc_co_u32_e32 v47, vcc, 0, v1, vcc
.LBB6_970:
	s_or_saveexec_b64 s[40:41], s[4:5]
	s_mov_b64 s[4:5], s[72:73]
	s_xor_b64 exec, exec, s[40:41]
	s_cbranch_execz .LBB6_1117
; %bb.971:
	s_load_dwordx2 s[6:7], s[48:49], 0x50
	v_mbcnt_lo_u32_b32 v0, -1, 0
	v_mbcnt_hi_u32_b32 v31, -1, v0
	v_accvgpr_write_b32 a4, v24
	v_accvgpr_write_b32 a2, v22
	;; [unrolled: 1-line block ×3, first 2 shown]
	v_readfirstlane_b32 s4, v31
	v_accvgpr_write_b32 a5, v25
	v_accvgpr_write_b32 a3, v23
	;; [unrolled: 1-line block ×3, first 2 shown]
	v_cmp_eq_u32_e64 s[4:5], s4, v31
	v_pk_mov_b32 v[6:7], 0, 0
	s_and_saveexec_b64 s[8:9], s[4:5]
	s_cbranch_execz .LBB6_977
; %bb.972:
	v_mov_b32_e32 v0, 0
	s_waitcnt lgkmcnt(0)
	global_load_dwordx2 v[4:5], v0, s[6:7] offset:24 glc
	s_waitcnt vmcnt(0)
	buffer_invl2
	buffer_wbinvl1_vol
	global_load_dwordx2 v[2:3], v0, s[6:7] offset:40
	global_load_dwordx2 v[6:7], v0, s[6:7]
	s_waitcnt vmcnt(1)
	v_and_b32_e32 v1, v2, v4
	v_and_b32_e32 v2, v3, v5
	v_mul_lo_u32 v2, v2, 24
	v_mul_hi_u32 v3, v1, 24
	v_mul_lo_u32 v1, v1, 24
	v_add_u32_e32 v3, v3, v2
	s_waitcnt vmcnt(0)
	v_add_co_u32_e32 v2, vcc, v6, v1
	v_addc_co_u32_e32 v3, vcc, v7, v3, vcc
	global_load_dwordx2 v[2:3], v[2:3], off glc
	s_waitcnt vmcnt(0)
	global_atomic_cmpswap_x2 v[6:7], v0, v[2:5], s[6:7] offset:24 glc
	s_waitcnt vmcnt(0)
	buffer_invl2
	buffer_wbinvl1_vol
	v_cmp_ne_u64_e32 vcc, v[6:7], v[4:5]
	s_and_saveexec_b64 s[14:15], vcc
	s_cbranch_execz .LBB6_976
; %bb.973:
	s_mov_b64 s[16:17], 0
.LBB6_974:                              ; =>This Inner Loop Header: Depth=1
	s_sleep 1
	global_load_dwordx2 v[2:3], v0, s[6:7] offset:40
	global_load_dwordx2 v[8:9], v0, s[6:7]
	v_pk_mov_b32 v[4:5], v[6:7], v[6:7] op_sel:[0,1]
	s_waitcnt vmcnt(1)
	v_and_b32_e32 v2, v2, v4
	v_and_b32_e32 v1, v3, v5
	s_waitcnt vmcnt(0)
	v_mad_u64_u32 v[2:3], s[18:19], v2, 24, v[8:9]
	v_mov_b32_e32 v6, v3
	v_mad_u64_u32 v[6:7], s[18:19], v1, 24, v[6:7]
	v_mov_b32_e32 v3, v6
	global_load_dwordx2 v[2:3], v[2:3], off glc
	s_waitcnt vmcnt(0)
	global_atomic_cmpswap_x2 v[6:7], v0, v[2:5], s[6:7] offset:24 glc
	s_waitcnt vmcnt(0)
	buffer_invl2
	buffer_wbinvl1_vol
	v_cmp_eq_u64_e32 vcc, v[6:7], v[4:5]
	s_or_b64 s[16:17], vcc, s[16:17]
	s_andn2_b64 exec, exec, s[16:17]
	s_cbranch_execnz .LBB6_974
; %bb.975:
	s_or_b64 exec, exec, s[16:17]
.LBB6_976:
	s_or_b64 exec, exec, s[14:15]
.LBB6_977:
	s_or_b64 exec, exec, s[8:9]
	v_mov_b32_e32 v5, 0
	s_waitcnt lgkmcnt(0)
	global_load_dwordx2 v[8:9], v5, s[6:7] offset:40
	global_load_dwordx4 v[0:3], v5, s[6:7]
	v_readfirstlane_b32 s8, v6
	v_readfirstlane_b32 s9, v7
	s_mov_b64 s[14:15], exec
	s_waitcnt vmcnt(0)
	v_readfirstlane_b32 s16, v8
	v_readfirstlane_b32 s17, v9
	s_and_b64 s[16:17], s[8:9], s[16:17]
	s_mul_i32 s18, s17, 24
	s_mul_hi_u32 s19, s16, 24
	s_mul_i32 s20, s16, 24
	s_add_i32 s18, s19, s18
	v_mov_b32_e32 v4, s18
	v_add_co_u32_e32 v8, vcc, s20, v0
	v_addc_co_u32_e32 v9, vcc, v1, v4, vcc
	s_and_saveexec_b64 s[18:19], s[4:5]
	s_cbranch_execz .LBB6_979
; %bb.978:
	v_pk_mov_b32 v[10:11], s[14:15], s[14:15] op_sel:[0,1]
	v_mov_b32_e32 v12, 2
	v_mov_b32_e32 v13, 1
	global_store_dwordx4 v[8:9], v[10:13], off offset:8
.LBB6_979:
	s_or_b64 exec, exec, s[18:19]
	s_lshl_b64 s[14:15], s[16:17], 12
	v_mov_b32_e32 v4, s15
	v_add_co_u32_e32 v2, vcc, s14, v2
	v_addc_co_u32_e32 v3, vcc, v3, v4, vcc
	s_mov_b32 s16, 0
	v_lshlrev_b32_e32 v30, 6, v31
	v_add_co_u32_e32 v10, vcc, v2, v30
	v_mov_b32_e32 v4, 33
	v_mov_b32_e32 v6, v5
	;; [unrolled: 1-line block ×3, first 2 shown]
	v_readfirstlane_b32 s14, v2
	v_readfirstlane_b32 s15, v3
	s_mov_b32 s17, s16
	v_addc_co_u32_e32 v11, vcc, 0, v3, vcc
	s_mov_b32 s18, s16
	s_mov_b32 s19, s16
	s_nop 0
	global_store_dwordx4 v30, v[4:7], s[14:15]
	v_pk_mov_b32 v[2:3], s[16:17], s[16:17] op_sel:[0,1]
	v_pk_mov_b32 v[4:5], s[18:19], s[18:19] op_sel:[0,1]
	global_store_dwordx4 v30, v[2:5], s[14:15] offset:16
	global_store_dwordx4 v30, v[2:5], s[14:15] offset:32
	;; [unrolled: 1-line block ×3, first 2 shown]
	s_and_saveexec_b64 s[14:15], s[4:5]
	s_cbranch_execz .LBB6_987
; %bb.980:
	v_mov_b32_e32 v6, 0
	global_load_dwordx2 v[14:15], v6, s[6:7] offset:32 glc
	global_load_dwordx2 v[2:3], v6, s[6:7] offset:40
	v_mov_b32_e32 v12, s8
	v_mov_b32_e32 v13, s9
	s_waitcnt vmcnt(0)
	v_and_b32_e32 v2, s8, v2
	v_and_b32_e32 v3, s9, v3
	v_mul_lo_u32 v3, v3, 24
	v_mul_hi_u32 v4, v2, 24
	v_mul_lo_u32 v2, v2, 24
	v_add_u32_e32 v3, v4, v3
	v_add_co_u32_e32 v4, vcc, v0, v2
	v_addc_co_u32_e32 v5, vcc, v1, v3, vcc
	global_store_dwordx2 v[4:5], v[14:15], off
	buffer_wbl2
	s_waitcnt vmcnt(0)
	global_atomic_cmpswap_x2 v[2:3], v6, v[12:15], s[6:7] offset:32 glc
	s_waitcnt vmcnt(0)
	v_cmp_ne_u64_e32 vcc, v[2:3], v[14:15]
	s_and_saveexec_b64 s[16:17], vcc
	s_cbranch_execz .LBB6_983
; %bb.981:
	s_mov_b64 s[18:19], 0
.LBB6_982:                              ; =>This Inner Loop Header: Depth=1
	s_sleep 1
	global_store_dwordx2 v[4:5], v[2:3], off
	v_mov_b32_e32 v0, s8
	v_mov_b32_e32 v1, s9
	buffer_wbl2
	s_waitcnt vmcnt(0)
	global_atomic_cmpswap_x2 v[0:1], v6, v[0:3], s[6:7] offset:32 glc
	s_waitcnt vmcnt(0)
	v_cmp_eq_u64_e32 vcc, v[0:1], v[2:3]
	s_or_b64 s[18:19], vcc, s[18:19]
	v_pk_mov_b32 v[2:3], v[0:1], v[0:1] op_sel:[0,1]
	s_andn2_b64 exec, exec, s[18:19]
	s_cbranch_execnz .LBB6_982
.LBB6_983:
	s_or_b64 exec, exec, s[16:17]
	v_mov_b32_e32 v3, 0
	global_load_dwordx2 v[0:1], v3, s[6:7] offset:16
	s_mov_b64 s[16:17], exec
	v_mbcnt_lo_u32_b32 v2, s16, 0
	v_mbcnt_hi_u32_b32 v2, s17, v2
	v_cmp_eq_u32_e32 vcc, 0, v2
	s_and_saveexec_b64 s[18:19], vcc
	s_cbranch_execz .LBB6_985
; %bb.984:
	s_bcnt1_i32_b64 s16, s[16:17]
	v_mov_b32_e32 v2, s16
	buffer_wbl2
	s_waitcnt vmcnt(0)
	global_atomic_add_x2 v[0:1], v[2:3], off offset:8
.LBB6_985:
	s_or_b64 exec, exec, s[18:19]
	s_waitcnt vmcnt(0)
	global_load_dwordx2 v[2:3], v[0:1], off offset:16
	s_waitcnt vmcnt(0)
	v_cmp_eq_u64_e32 vcc, 0, v[2:3]
	s_cbranch_vccnz .LBB6_987
; %bb.986:
	global_load_dword v0, v[0:1], off offset:24
	v_mov_b32_e32 v1, 0
	buffer_wbl2
	s_waitcnt vmcnt(0)
	global_store_dwordx2 v[2:3], v[0:1], off
	v_and_b32_e32 v0, 0xffffff, v0
	v_readfirstlane_b32 m0, v0
	s_sendmsg sendmsg(MSG_INTERRUPT)
.LBB6_987:
	s_or_b64 exec, exec, s[14:15]
	s_branch .LBB6_989
.LBB6_988:
	s_branch .LBB6_993
.LBB6_989:                              ; =>This Inner Loop Header: Depth=1
	v_mov_b32_e32 v0, 1
	s_and_saveexec_b64 s[14:15], s[4:5]
	s_cbranch_execz .LBB6_991
; %bb.990:                              ;   in Loop: Header=BB6_989 Depth=1
	global_load_dword v0, v[8:9], off offset:20 glc
	s_waitcnt vmcnt(0)
	buffer_invl2
	buffer_wbinvl1_vol
	v_and_b32_e32 v0, 1, v0
.LBB6_991:                              ;   in Loop: Header=BB6_989 Depth=1
	s_or_b64 exec, exec, s[14:15]
	v_readfirstlane_b32 s14, v0
	s_cmp_eq_u32 s14, 0
	s_cbranch_scc1 .LBB6_988
; %bb.992:                              ;   in Loop: Header=BB6_989 Depth=1
	s_sleep 1
	s_cbranch_execnz .LBB6_989
.LBB6_993:
	global_load_dwordx2 v[0:1], v[10:11], off
	s_and_saveexec_b64 s[14:15], s[4:5]
	s_cbranch_execz .LBB6_996
; %bb.994:
	v_mov_b32_e32 v8, 0
	global_load_dwordx2 v[6:7], v8, s[6:7] offset:40
	global_load_dwordx2 v[10:11], v8, s[6:7] offset:24 glc
	global_load_dwordx2 v[12:13], v8, s[6:7]
	v_mov_b32_e32 v3, s9
	s_mov_b64 s[4:5], 0
	s_waitcnt vmcnt(2)
	v_add_co_u32_e32 v5, vcc, 1, v6
	v_addc_co_u32_e32 v9, vcc, 0, v7, vcc
	v_add_co_u32_e32 v2, vcc, s8, v5
	v_addc_co_u32_e32 v3, vcc, v9, v3, vcc
	v_cmp_eq_u64_e32 vcc, 0, v[2:3]
	v_cndmask_b32_e32 v3, v3, v9, vcc
	v_cndmask_b32_e32 v2, v2, v5, vcc
	v_and_b32_e32 v5, v3, v7
	v_and_b32_e32 v6, v2, v6
	v_mul_lo_u32 v5, v5, 24
	v_mul_hi_u32 v7, v6, 24
	v_mul_lo_u32 v6, v6, 24
	v_add_u32_e32 v5, v7, v5
	s_waitcnt vmcnt(0)
	v_add_co_u32_e32 v6, vcc, v12, v6
	v_addc_co_u32_e32 v7, vcc, v13, v5, vcc
	v_mov_b32_e32 v4, v10
	global_store_dwordx2 v[6:7], v[10:11], off
	v_mov_b32_e32 v5, v11
	buffer_wbl2
	s_waitcnt vmcnt(0)
	global_atomic_cmpswap_x2 v[4:5], v8, v[2:5], s[6:7] offset:24 glc
	s_waitcnt vmcnt(0)
	v_cmp_ne_u64_e32 vcc, v[4:5], v[10:11]
	s_and_b64 exec, exec, vcc
	s_cbranch_execz .LBB6_996
.LBB6_995:                              ; =>This Inner Loop Header: Depth=1
	s_sleep 1
	global_store_dwordx2 v[6:7], v[4:5], off
	buffer_wbl2
	s_waitcnt vmcnt(0)
	global_atomic_cmpswap_x2 v[10:11], v8, v[2:5], s[6:7] offset:24 glc
	s_waitcnt vmcnt(0)
	v_cmp_eq_u64_e32 vcc, v[10:11], v[4:5]
	s_or_b64 s[4:5], vcc, s[4:5]
	v_pk_mov_b32 v[4:5], v[10:11], v[10:11] op_sel:[0,1]
	s_andn2_b64 exec, exec, s[4:5]
	s_cbranch_execnz .LBB6_995
.LBB6_996:
	s_or_b64 exec, exec, s[14:15]
	s_getpc_b64 s[8:9]
	s_add_u32 s8, s8, .str.28@rel32@lo+4
	s_addc_u32 s9, s9, .str.28@rel32@hi+12
	s_cmp_lg_u64 s[8:9], 0
	s_cbranch_scc0 .LBB6_1088
; %bb.997:
	s_waitcnt vmcnt(0)
	v_and_b32_e32 v6, -3, v0
	v_mov_b32_e32 v7, v1
	s_mov_b64 s[14:15], 35
	v_mov_b32_e32 v27, 0
	v_mov_b32_e32 v4, 2
	;; [unrolled: 1-line block ×3, first 2 shown]
	s_branch .LBB6_999
.LBB6_998:                              ;   in Loop: Header=BB6_999 Depth=1
	s_or_b64 exec, exec, s[20:21]
	s_sub_u32 s14, s14, s16
	s_subb_u32 s15, s15, s17
	s_add_u32 s8, s8, s16
	s_addc_u32 s9, s9, s17
	s_cmp_lg_u64 s[14:15], 0
	s_cbranch_scc0 .LBB6_1087
.LBB6_999:                              ; =>This Loop Header: Depth=1
                                        ;     Child Loop BB6_1002 Depth 2
                                        ;     Child Loop BB6_1010 Depth 2
                                        ;     Child Loop BB6_1019 Depth 2
                                        ;     Child Loop BB6_1028 Depth 2
                                        ;     Child Loop BB6_1037 Depth 2
                                        ;     Child Loop BB6_1046 Depth 2
                                        ;     Child Loop BB6_1055 Depth 2
                                        ;     Child Loop BB6_1064 Depth 2
                                        ;     Child Loop BB6_1072 Depth 2
                                        ;     Child Loop BB6_1079 Depth 2
                                        ;     Child Loop BB6_1086 Depth 2
	v_cmp_lt_u64_e64 s[4:5], s[14:15], 56
	s_and_b64 s[4:5], s[4:5], exec
	v_cmp_gt_u64_e64 s[4:5], s[14:15], 7
	s_cselect_b32 s17, s15, 0
	s_cselect_b32 s16, s14, 56
	s_and_b64 vcc, exec, s[4:5]
	s_cbranch_vccnz .LBB6_1004
; %bb.1000:                             ;   in Loop: Header=BB6_999 Depth=1
	s_mov_b64 s[4:5], 0
	s_cmp_eq_u64 s[14:15], 0
	s_waitcnt vmcnt(0)
	v_pk_mov_b32 v[8:9], 0, 0
	s_cbranch_scc1 .LBB6_1003
; %bb.1001:                             ;   in Loop: Header=BB6_999 Depth=1
	s_lshl_b64 s[18:19], s[16:17], 3
	s_mov_b64 s[20:21], 0
	v_pk_mov_b32 v[8:9], 0, 0
	s_mov_b64 s[22:23], s[8:9]
.LBB6_1002:                             ;   Parent Loop BB6_999 Depth=1
                                        ; =>  This Inner Loop Header: Depth=2
	global_load_ubyte v2, v27, s[22:23]
	s_waitcnt vmcnt(0)
	v_and_b32_e32 v26, 0xffff, v2
	v_lshlrev_b64 v[2:3], s20, v[26:27]
	s_add_u32 s20, s20, 8
	s_addc_u32 s21, s21, 0
	s_add_u32 s22, s22, 1
	s_addc_u32 s23, s23, 0
	v_or_b32_e32 v8, v2, v8
	s_cmp_lg_u32 s18, s20
	v_or_b32_e32 v9, v3, v9
	s_cbranch_scc1 .LBB6_1002
.LBB6_1003:                             ;   in Loop: Header=BB6_999 Depth=1
	s_mov_b32 s22, 0
	s_branch .LBB6_1005
.LBB6_1004:                             ;   in Loop: Header=BB6_999 Depth=1
	s_mov_b64 s[4:5], -1
                                        ; implicit-def: $sgpr22
.LBB6_1005:                             ;   in Loop: Header=BB6_999 Depth=1
	s_andn2_b64 vcc, exec, s[4:5]
	s_mov_b64 s[4:5], s[8:9]
	s_cbranch_vccnz .LBB6_1007
; %bb.1006:                             ;   in Loop: Header=BB6_999 Depth=1
	global_load_dwordx2 v[8:9], v27, s[8:9]
	s_add_i32 s22, s16, -8
	s_add_u32 s4, s8, 8
	s_addc_u32 s5, s9, 0
.LBB6_1007:                             ;   in Loop: Header=BB6_999 Depth=1
	s_cmp_gt_u32 s22, 7
	s_cbranch_scc1 .LBB6_1011
; %bb.1008:                             ;   in Loop: Header=BB6_999 Depth=1
	s_cmp_eq_u32 s22, 0
	s_cbranch_scc1 .LBB6_1012
; %bb.1009:                             ;   in Loop: Header=BB6_999 Depth=1
	s_mov_b64 s[18:19], 0
	v_pk_mov_b32 v[10:11], 0, 0
	s_mov_b64 s[20:21], 0
.LBB6_1010:                             ;   Parent Loop BB6_999 Depth=1
                                        ; =>  This Inner Loop Header: Depth=2
	s_add_u32 s24, s4, s20
	s_addc_u32 s25, s5, s21
	global_load_ubyte v2, v27, s[24:25]
	s_add_u32 s20, s20, 1
	s_addc_u32 s21, s21, 0
	s_waitcnt vmcnt(0)
	v_and_b32_e32 v26, 0xffff, v2
	v_lshlrev_b64 v[2:3], s18, v[26:27]
	s_add_u32 s18, s18, 8
	s_addc_u32 s19, s19, 0
	v_or_b32_e32 v10, v2, v10
	s_cmp_lg_u32 s22, s20
	v_or_b32_e32 v11, v3, v11
	s_cbranch_scc1 .LBB6_1010
	s_branch .LBB6_1013
.LBB6_1011:                             ;   in Loop: Header=BB6_999 Depth=1
	s_mov_b64 s[18:19], -1
                                        ; implicit-def: $vgpr10_vgpr11
                                        ; implicit-def: $sgpr23
	s_branch .LBB6_1014
.LBB6_1012:                             ;   in Loop: Header=BB6_999 Depth=1
	v_pk_mov_b32 v[10:11], 0, 0
.LBB6_1013:                             ;   in Loop: Header=BB6_999 Depth=1
	s_mov_b64 s[18:19], 0
	s_mov_b32 s23, 0
.LBB6_1014:                             ;   in Loop: Header=BB6_999 Depth=1
	s_andn2_b64 vcc, exec, s[18:19]
	s_cbranch_vccnz .LBB6_1016
; %bb.1015:                             ;   in Loop: Header=BB6_999 Depth=1
	global_load_dwordx2 v[10:11], v27, s[4:5]
	s_add_i32 s23, s22, -8
	s_add_u32 s4, s4, 8
	s_addc_u32 s5, s5, 0
.LBB6_1016:                             ;   in Loop: Header=BB6_999 Depth=1
	s_cmp_gt_u32 s23, 7
	s_cbranch_scc1 .LBB6_1020
; %bb.1017:                             ;   in Loop: Header=BB6_999 Depth=1
	s_cmp_eq_u32 s23, 0
	s_cbranch_scc1 .LBB6_1021
; %bb.1018:                             ;   in Loop: Header=BB6_999 Depth=1
	s_mov_b64 s[18:19], 0
	v_pk_mov_b32 v[12:13], 0, 0
	s_mov_b64 s[20:21], 0
.LBB6_1019:                             ;   Parent Loop BB6_999 Depth=1
                                        ; =>  This Inner Loop Header: Depth=2
	s_add_u32 s24, s4, s20
	s_addc_u32 s25, s5, s21
	global_load_ubyte v2, v27, s[24:25]
	s_add_u32 s20, s20, 1
	s_addc_u32 s21, s21, 0
	s_waitcnt vmcnt(0)
	v_and_b32_e32 v26, 0xffff, v2
	v_lshlrev_b64 v[2:3], s18, v[26:27]
	s_add_u32 s18, s18, 8
	s_addc_u32 s19, s19, 0
	v_or_b32_e32 v12, v2, v12
	s_cmp_lg_u32 s23, s20
	v_or_b32_e32 v13, v3, v13
	s_cbranch_scc1 .LBB6_1019
	s_branch .LBB6_1022
.LBB6_1020:                             ;   in Loop: Header=BB6_999 Depth=1
	s_mov_b64 s[18:19], -1
                                        ; implicit-def: $sgpr22
	s_branch .LBB6_1023
.LBB6_1021:                             ;   in Loop: Header=BB6_999 Depth=1
	v_pk_mov_b32 v[12:13], 0, 0
.LBB6_1022:                             ;   in Loop: Header=BB6_999 Depth=1
	s_mov_b64 s[18:19], 0
	s_mov_b32 s22, 0
.LBB6_1023:                             ;   in Loop: Header=BB6_999 Depth=1
	s_andn2_b64 vcc, exec, s[18:19]
	s_cbranch_vccnz .LBB6_1025
; %bb.1024:                             ;   in Loop: Header=BB6_999 Depth=1
	global_load_dwordx2 v[12:13], v27, s[4:5]
	s_add_i32 s22, s23, -8
	s_add_u32 s4, s4, 8
	s_addc_u32 s5, s5, 0
.LBB6_1025:                             ;   in Loop: Header=BB6_999 Depth=1
	s_cmp_gt_u32 s22, 7
	s_cbranch_scc1 .LBB6_1029
; %bb.1026:                             ;   in Loop: Header=BB6_999 Depth=1
	s_cmp_eq_u32 s22, 0
	s_cbranch_scc1 .LBB6_1030
; %bb.1027:                             ;   in Loop: Header=BB6_999 Depth=1
	s_mov_b64 s[18:19], 0
	v_pk_mov_b32 v[14:15], 0, 0
	s_mov_b64 s[20:21], 0
.LBB6_1028:                             ;   Parent Loop BB6_999 Depth=1
                                        ; =>  This Inner Loop Header: Depth=2
	s_add_u32 s24, s4, s20
	s_addc_u32 s25, s5, s21
	global_load_ubyte v2, v27, s[24:25]
	s_add_u32 s20, s20, 1
	s_addc_u32 s21, s21, 0
	s_waitcnt vmcnt(0)
	v_and_b32_e32 v26, 0xffff, v2
	v_lshlrev_b64 v[2:3], s18, v[26:27]
	s_add_u32 s18, s18, 8
	s_addc_u32 s19, s19, 0
	v_or_b32_e32 v14, v2, v14
	s_cmp_lg_u32 s22, s20
	v_or_b32_e32 v15, v3, v15
	s_cbranch_scc1 .LBB6_1028
	s_branch .LBB6_1031
.LBB6_1029:                             ;   in Loop: Header=BB6_999 Depth=1
	s_mov_b64 s[18:19], -1
                                        ; implicit-def: $vgpr14_vgpr15
                                        ; implicit-def: $sgpr23
	s_branch .LBB6_1032
.LBB6_1030:                             ;   in Loop: Header=BB6_999 Depth=1
	v_pk_mov_b32 v[14:15], 0, 0
.LBB6_1031:                             ;   in Loop: Header=BB6_999 Depth=1
	s_mov_b64 s[18:19], 0
	s_mov_b32 s23, 0
.LBB6_1032:                             ;   in Loop: Header=BB6_999 Depth=1
	s_andn2_b64 vcc, exec, s[18:19]
	s_cbranch_vccnz .LBB6_1034
; %bb.1033:                             ;   in Loop: Header=BB6_999 Depth=1
	global_load_dwordx2 v[14:15], v27, s[4:5]
	s_add_i32 s23, s22, -8
	s_add_u32 s4, s4, 8
	s_addc_u32 s5, s5, 0
.LBB6_1034:                             ;   in Loop: Header=BB6_999 Depth=1
	s_cmp_gt_u32 s23, 7
	s_cbranch_scc1 .LBB6_1038
; %bb.1035:                             ;   in Loop: Header=BB6_999 Depth=1
	s_cmp_eq_u32 s23, 0
	s_cbranch_scc1 .LBB6_1039
; %bb.1036:                             ;   in Loop: Header=BB6_999 Depth=1
	s_mov_b64 s[18:19], 0
	v_pk_mov_b32 v[16:17], 0, 0
	s_mov_b64 s[20:21], 0
.LBB6_1037:                             ;   Parent Loop BB6_999 Depth=1
                                        ; =>  This Inner Loop Header: Depth=2
	s_add_u32 s24, s4, s20
	s_addc_u32 s25, s5, s21
	global_load_ubyte v2, v27, s[24:25]
	s_add_u32 s20, s20, 1
	s_addc_u32 s21, s21, 0
	s_waitcnt vmcnt(0)
	v_and_b32_e32 v26, 0xffff, v2
	v_lshlrev_b64 v[2:3], s18, v[26:27]
	s_add_u32 s18, s18, 8
	s_addc_u32 s19, s19, 0
	v_or_b32_e32 v16, v2, v16
	s_cmp_lg_u32 s23, s20
	v_or_b32_e32 v17, v3, v17
	s_cbranch_scc1 .LBB6_1037
	s_branch .LBB6_1040
.LBB6_1038:                             ;   in Loop: Header=BB6_999 Depth=1
	s_mov_b64 s[18:19], -1
                                        ; implicit-def: $sgpr22
	s_branch .LBB6_1041
.LBB6_1039:                             ;   in Loop: Header=BB6_999 Depth=1
	v_pk_mov_b32 v[16:17], 0, 0
.LBB6_1040:                             ;   in Loop: Header=BB6_999 Depth=1
	s_mov_b64 s[18:19], 0
	s_mov_b32 s22, 0
.LBB6_1041:                             ;   in Loop: Header=BB6_999 Depth=1
	s_andn2_b64 vcc, exec, s[18:19]
	s_cbranch_vccnz .LBB6_1043
; %bb.1042:                             ;   in Loop: Header=BB6_999 Depth=1
	global_load_dwordx2 v[16:17], v27, s[4:5]
	s_add_i32 s22, s23, -8
	s_add_u32 s4, s4, 8
	s_addc_u32 s5, s5, 0
.LBB6_1043:                             ;   in Loop: Header=BB6_999 Depth=1
	s_cmp_gt_u32 s22, 7
	s_cbranch_scc1 .LBB6_1047
; %bb.1044:                             ;   in Loop: Header=BB6_999 Depth=1
	s_cmp_eq_u32 s22, 0
	s_cbranch_scc1 .LBB6_1048
; %bb.1045:                             ;   in Loop: Header=BB6_999 Depth=1
	s_mov_b64 s[18:19], 0
	v_pk_mov_b32 v[18:19], 0, 0
	s_mov_b64 s[20:21], 0
.LBB6_1046:                             ;   Parent Loop BB6_999 Depth=1
                                        ; =>  This Inner Loop Header: Depth=2
	s_add_u32 s24, s4, s20
	s_addc_u32 s25, s5, s21
	global_load_ubyte v2, v27, s[24:25]
	s_add_u32 s20, s20, 1
	s_addc_u32 s21, s21, 0
	s_waitcnt vmcnt(0)
	v_and_b32_e32 v26, 0xffff, v2
	v_lshlrev_b64 v[2:3], s18, v[26:27]
	s_add_u32 s18, s18, 8
	s_addc_u32 s19, s19, 0
	v_or_b32_e32 v18, v2, v18
	s_cmp_lg_u32 s22, s20
	v_or_b32_e32 v19, v3, v19
	s_cbranch_scc1 .LBB6_1046
	s_branch .LBB6_1049
.LBB6_1047:                             ;   in Loop: Header=BB6_999 Depth=1
	s_mov_b64 s[18:19], -1
                                        ; implicit-def: $vgpr18_vgpr19
                                        ; implicit-def: $sgpr23
	s_branch .LBB6_1050
.LBB6_1048:                             ;   in Loop: Header=BB6_999 Depth=1
	v_pk_mov_b32 v[18:19], 0, 0
.LBB6_1049:                             ;   in Loop: Header=BB6_999 Depth=1
	s_mov_b64 s[18:19], 0
	s_mov_b32 s23, 0
.LBB6_1050:                             ;   in Loop: Header=BB6_999 Depth=1
	s_andn2_b64 vcc, exec, s[18:19]
	s_cbranch_vccnz .LBB6_1052
; %bb.1051:                             ;   in Loop: Header=BB6_999 Depth=1
	global_load_dwordx2 v[18:19], v27, s[4:5]
	s_add_i32 s23, s22, -8
	s_add_u32 s4, s4, 8
	s_addc_u32 s5, s5, 0
.LBB6_1052:                             ;   in Loop: Header=BB6_999 Depth=1
	s_cmp_gt_u32 s23, 7
	s_cbranch_scc1 .LBB6_1056
; %bb.1053:                             ;   in Loop: Header=BB6_999 Depth=1
	s_cmp_eq_u32 s23, 0
	s_cbranch_scc1 .LBB6_1057
; %bb.1054:                             ;   in Loop: Header=BB6_999 Depth=1
	s_mov_b64 s[18:19], 0
	v_pk_mov_b32 v[20:21], 0, 0
	s_mov_b64 s[20:21], s[4:5]
.LBB6_1055:                             ;   Parent Loop BB6_999 Depth=1
                                        ; =>  This Inner Loop Header: Depth=2
	global_load_ubyte v2, v27, s[20:21]
	s_add_i32 s23, s23, -1
	s_waitcnt vmcnt(0)
	v_and_b32_e32 v26, 0xffff, v2
	v_lshlrev_b64 v[2:3], s18, v[26:27]
	s_add_u32 s18, s18, 8
	s_addc_u32 s19, s19, 0
	s_add_u32 s20, s20, 1
	s_addc_u32 s21, s21, 0
	v_or_b32_e32 v20, v2, v20
	s_cmp_lg_u32 s23, 0
	v_or_b32_e32 v21, v3, v21
	s_cbranch_scc1 .LBB6_1055
	s_branch .LBB6_1058
.LBB6_1056:                             ;   in Loop: Header=BB6_999 Depth=1
	s_mov_b64 s[18:19], -1
	s_branch .LBB6_1059
.LBB6_1057:                             ;   in Loop: Header=BB6_999 Depth=1
	v_pk_mov_b32 v[20:21], 0, 0
.LBB6_1058:                             ;   in Loop: Header=BB6_999 Depth=1
	s_mov_b64 s[18:19], 0
.LBB6_1059:                             ;   in Loop: Header=BB6_999 Depth=1
	s_andn2_b64 vcc, exec, s[18:19]
	s_cbranch_vccnz .LBB6_1061
; %bb.1060:                             ;   in Loop: Header=BB6_999 Depth=1
	global_load_dwordx2 v[20:21], v27, s[4:5]
.LBB6_1061:                             ;   in Loop: Header=BB6_999 Depth=1
	v_readfirstlane_b32 s4, v31
	v_cmp_eq_u32_e64 s[4:5], s4, v31
	v_pk_mov_b32 v[2:3], 0, 0
	s_and_saveexec_b64 s[18:19], s[4:5]
	s_cbranch_execz .LBB6_1067
; %bb.1062:                             ;   in Loop: Header=BB6_999 Depth=1
	global_load_dwordx2 v[24:25], v27, s[6:7] offset:24 glc
	s_waitcnt vmcnt(0)
	buffer_invl2
	buffer_wbinvl1_vol
	global_load_dwordx2 v[2:3], v27, s[6:7] offset:40
	global_load_dwordx2 v[22:23], v27, s[6:7]
	s_waitcnt vmcnt(1)
	v_and_b32_e32 v2, v2, v24
	v_and_b32_e32 v3, v3, v25
	v_mul_lo_u32 v3, v3, 24
	v_mul_hi_u32 v26, v2, 24
	v_mul_lo_u32 v2, v2, 24
	v_add_u32_e32 v3, v26, v3
	s_waitcnt vmcnt(0)
	v_add_co_u32_e32 v2, vcc, v22, v2
	v_addc_co_u32_e32 v3, vcc, v23, v3, vcc
	global_load_dwordx2 v[22:23], v[2:3], off glc
	s_waitcnt vmcnt(0)
	global_atomic_cmpswap_x2 v[2:3], v27, v[22:25], s[6:7] offset:24 glc
	s_waitcnt vmcnt(0)
	buffer_invl2
	buffer_wbinvl1_vol
	v_cmp_ne_u64_e32 vcc, v[2:3], v[24:25]
	s_and_saveexec_b64 s[20:21], vcc
	s_cbranch_execz .LBB6_1066
; %bb.1063:                             ;   in Loop: Header=BB6_999 Depth=1
	s_mov_b64 s[22:23], 0
.LBB6_1064:                             ;   Parent Loop BB6_999 Depth=1
                                        ; =>  This Inner Loop Header: Depth=2
	s_sleep 1
	global_load_dwordx2 v[22:23], v27, s[6:7] offset:40
	global_load_dwordx2 v[28:29], v27, s[6:7]
	v_pk_mov_b32 v[24:25], v[2:3], v[2:3] op_sel:[0,1]
	s_waitcnt vmcnt(1)
	v_and_b32_e32 v2, v22, v24
	s_waitcnt vmcnt(0)
	v_mad_u64_u32 v[2:3], s[24:25], v2, 24, v[28:29]
	v_and_b32_e32 v23, v23, v25
	v_mov_b32_e32 v22, v3
	v_mad_u64_u32 v[22:23], s[24:25], v23, 24, v[22:23]
	v_mov_b32_e32 v3, v22
	global_load_dwordx2 v[22:23], v[2:3], off glc
	s_waitcnt vmcnt(0)
	global_atomic_cmpswap_x2 v[2:3], v27, v[22:25], s[6:7] offset:24 glc
	s_waitcnt vmcnt(0)
	buffer_invl2
	buffer_wbinvl1_vol
	v_cmp_eq_u64_e32 vcc, v[2:3], v[24:25]
	s_or_b64 s[22:23], vcc, s[22:23]
	s_andn2_b64 exec, exec, s[22:23]
	s_cbranch_execnz .LBB6_1064
; %bb.1065:                             ;   in Loop: Header=BB6_999 Depth=1
	s_or_b64 exec, exec, s[22:23]
.LBB6_1066:                             ;   in Loop: Header=BB6_999 Depth=1
	s_or_b64 exec, exec, s[20:21]
.LBB6_1067:                             ;   in Loop: Header=BB6_999 Depth=1
	s_or_b64 exec, exec, s[18:19]
	global_load_dwordx2 v[28:29], v27, s[6:7] offset:40
	global_load_dwordx4 v[22:25], v27, s[6:7]
	v_readfirstlane_b32 s18, v2
	v_readfirstlane_b32 s19, v3
	s_mov_b64 s[20:21], exec
	s_waitcnt vmcnt(1)
	v_readfirstlane_b32 s22, v28
	v_readfirstlane_b32 s23, v29
	s_and_b64 s[22:23], s[18:19], s[22:23]
	s_mul_i32 s24, s23, 24
	s_mul_hi_u32 s25, s22, 24
	s_mul_i32 vcc_lo, s22, 24
	s_add_i32 s24, s25, s24
	v_mov_b32_e32 v2, s24
	s_waitcnt vmcnt(0)
	v_add_co_u32_e32 v28, vcc, vcc_lo, v22
	v_addc_co_u32_e32 v29, vcc, v23, v2, vcc
	s_and_saveexec_b64 s[24:25], s[4:5]
	s_cbranch_execz .LBB6_1069
; %bb.1068:                             ;   in Loop: Header=BB6_999 Depth=1
	v_pk_mov_b32 v[2:3], s[20:21], s[20:21] op_sel:[0,1]
	global_store_dwordx4 v[28:29], v[2:5], off offset:8
.LBB6_1069:                             ;   in Loop: Header=BB6_999 Depth=1
	s_or_b64 exec, exec, s[24:25]
	s_lshl_b64 s[20:21], s[22:23], 12
	v_mov_b32_e32 v3, s21
	v_add_co_u32_e32 v2, vcc, s20, v24
	v_addc_co_u32_e32 v3, vcc, v25, v3, vcc
	v_or_b32_e32 v24, 2, v6
	v_cmp_gt_u64_e64 vcc, s[14:15], 56
	s_lshl_b32 s20, s16, 2
	v_cndmask_b32_e32 v6, v24, v6, vcc
	s_add_i32 s20, s20, 28
	s_and_b32 s20, s20, 0x1e0
	v_and_b32_e32 v6, 0xffffff1f, v6
	v_or_b32_e32 v6, s20, v6
	v_readfirstlane_b32 s20, v2
	v_readfirstlane_b32 s21, v3
	s_nop 4
	global_store_dwordx4 v30, v[6:9], s[20:21]
	global_store_dwordx4 v30, v[10:13], s[20:21] offset:16
	global_store_dwordx4 v30, v[14:17], s[20:21] offset:32
	;; [unrolled: 1-line block ×3, first 2 shown]
	s_and_saveexec_b64 s[20:21], s[4:5]
	s_cbranch_execz .LBB6_1077
; %bb.1070:                             ;   in Loop: Header=BB6_999 Depth=1
	global_load_dwordx2 v[14:15], v27, s[6:7] offset:32 glc
	global_load_dwordx2 v[6:7], v27, s[6:7] offset:40
	v_mov_b32_e32 v12, s18
	v_mov_b32_e32 v13, s19
	s_waitcnt vmcnt(0)
	v_readfirstlane_b32 s22, v6
	v_readfirstlane_b32 s23, v7
	s_and_b64 s[22:23], s[22:23], s[18:19]
	s_mul_i32 s23, s23, 24
	s_mul_hi_u32 s24, s22, 24
	s_mul_i32 s22, s22, 24
	s_add_i32 s23, s24, s23
	v_mov_b32_e32 v6, s23
	v_add_co_u32_e32 v10, vcc, s22, v22
	v_addc_co_u32_e32 v11, vcc, v23, v6, vcc
	global_store_dwordx2 v[10:11], v[14:15], off
	buffer_wbl2
	s_waitcnt vmcnt(0)
	global_atomic_cmpswap_x2 v[8:9], v27, v[12:15], s[6:7] offset:32 glc
	s_waitcnt vmcnt(0)
	v_cmp_ne_u64_e32 vcc, v[8:9], v[14:15]
	s_and_saveexec_b64 s[22:23], vcc
	s_cbranch_execz .LBB6_1073
; %bb.1071:                             ;   in Loop: Header=BB6_999 Depth=1
	s_mov_b64 s[24:25], 0
.LBB6_1072:                             ;   Parent Loop BB6_999 Depth=1
                                        ; =>  This Inner Loop Header: Depth=2
	s_sleep 1
	global_store_dwordx2 v[10:11], v[8:9], off
	v_mov_b32_e32 v6, s18
	v_mov_b32_e32 v7, s19
	buffer_wbl2
	s_waitcnt vmcnt(0)
	global_atomic_cmpswap_x2 v[6:7], v27, v[6:9], s[6:7] offset:32 glc
	s_waitcnt vmcnt(0)
	v_cmp_eq_u64_e32 vcc, v[6:7], v[8:9]
	s_or_b64 s[24:25], vcc, s[24:25]
	v_pk_mov_b32 v[8:9], v[6:7], v[6:7] op_sel:[0,1]
	s_andn2_b64 exec, exec, s[24:25]
	s_cbranch_execnz .LBB6_1072
.LBB6_1073:                             ;   in Loop: Header=BB6_999 Depth=1
	s_or_b64 exec, exec, s[22:23]
	global_load_dwordx2 v[6:7], v27, s[6:7] offset:16
	s_mov_b64 s[24:25], exec
	v_mbcnt_lo_u32_b32 v8, s24, 0
	v_mbcnt_hi_u32_b32 v8, s25, v8
	v_cmp_eq_u32_e32 vcc, 0, v8
	s_and_saveexec_b64 s[22:23], vcc
	s_cbranch_execz .LBB6_1075
; %bb.1074:                             ;   in Loop: Header=BB6_999 Depth=1
	s_bcnt1_i32_b64 s24, s[24:25]
	v_mov_b32_e32 v26, s24
	buffer_wbl2
	s_waitcnt vmcnt(0)
	global_atomic_add_x2 v[6:7], v[26:27], off offset:8
.LBB6_1075:                             ;   in Loop: Header=BB6_999 Depth=1
	s_or_b64 exec, exec, s[22:23]
	s_waitcnt vmcnt(0)
	global_load_dwordx2 v[8:9], v[6:7], off offset:16
	s_waitcnt vmcnt(0)
	v_cmp_eq_u64_e32 vcc, 0, v[8:9]
	s_cbranch_vccnz .LBB6_1077
; %bb.1076:                             ;   in Loop: Header=BB6_999 Depth=1
	global_load_dword v26, v[6:7], off offset:24
	s_waitcnt vmcnt(0)
	v_and_b32_e32 v6, 0xffffff, v26
	v_readfirstlane_b32 m0, v6
	buffer_wbl2
	global_store_dwordx2 v[8:9], v[26:27], off
	s_sendmsg sendmsg(MSG_INTERRUPT)
.LBB6_1077:                             ;   in Loop: Header=BB6_999 Depth=1
	s_or_b64 exec, exec, s[20:21]
	v_add_co_u32_e32 v2, vcc, v2, v30
	v_addc_co_u32_e32 v3, vcc, 0, v3, vcc
	s_branch .LBB6_1079
.LBB6_1078:                             ;   in Loop: Header=BB6_999 Depth=1
	s_branch .LBB6_1083
.LBB6_1079:                             ;   Parent Loop BB6_999 Depth=1
                                        ; =>  This Inner Loop Header: Depth=2
	v_mov_b32_e32 v6, 1
	s_and_saveexec_b64 s[20:21], s[4:5]
	s_cbranch_execz .LBB6_1081
; %bb.1080:                             ;   in Loop: Header=BB6_1079 Depth=2
	global_load_dword v6, v[28:29], off offset:20 glc
	s_waitcnt vmcnt(0)
	buffer_invl2
	buffer_wbinvl1_vol
	v_and_b32_e32 v6, 1, v6
.LBB6_1081:                             ;   in Loop: Header=BB6_1079 Depth=2
	s_or_b64 exec, exec, s[20:21]
	v_readfirstlane_b32 s20, v6
	s_cmp_eq_u32 s20, 0
	s_cbranch_scc1 .LBB6_1078
; %bb.1082:                             ;   in Loop: Header=BB6_1079 Depth=2
	s_sleep 1
	s_cbranch_execnz .LBB6_1079
.LBB6_1083:                             ;   in Loop: Header=BB6_999 Depth=1
	global_load_dwordx4 v[6:9], v[2:3], off
	s_and_saveexec_b64 s[20:21], s[4:5]
	s_cbranch_execz .LBB6_998
; %bb.1084:                             ;   in Loop: Header=BB6_999 Depth=1
	global_load_dwordx2 v[2:3], v27, s[6:7] offset:40
	global_load_dwordx2 v[12:13], v27, s[6:7] offset:24 glc
	global_load_dwordx2 v[14:15], v27, s[6:7]
	s_waitcnt vmcnt(3)
	v_mov_b32_e32 v9, s19
	s_waitcnt vmcnt(2)
	v_add_co_u32_e32 v11, vcc, 1, v2
	v_addc_co_u32_e32 v16, vcc, 0, v3, vcc
	v_add_co_u32_e32 v8, vcc, s18, v11
	v_addc_co_u32_e32 v9, vcc, v16, v9, vcc
	v_cmp_eq_u64_e32 vcc, 0, v[8:9]
	v_cndmask_b32_e32 v9, v9, v16, vcc
	v_cndmask_b32_e32 v8, v8, v11, vcc
	v_and_b32_e32 v3, v9, v3
	v_and_b32_e32 v2, v8, v2
	v_mul_lo_u32 v3, v3, 24
	v_mul_hi_u32 v11, v2, 24
	v_mul_lo_u32 v2, v2, 24
	v_add_u32_e32 v3, v11, v3
	s_waitcnt vmcnt(0)
	v_add_co_u32_e32 v2, vcc, v14, v2
	v_addc_co_u32_e32 v3, vcc, v15, v3, vcc
	v_mov_b32_e32 v10, v12
	global_store_dwordx2 v[2:3], v[12:13], off
	v_mov_b32_e32 v11, v13
	buffer_wbl2
	s_waitcnt vmcnt(0)
	global_atomic_cmpswap_x2 v[10:11], v27, v[8:11], s[6:7] offset:24 glc
	s_waitcnt vmcnt(0)
	v_cmp_ne_u64_e32 vcc, v[10:11], v[12:13]
	s_and_b64 exec, exec, vcc
	s_cbranch_execz .LBB6_998
; %bb.1085:                             ;   in Loop: Header=BB6_999 Depth=1
	s_mov_b64 s[4:5], 0
.LBB6_1086:                             ;   Parent Loop BB6_999 Depth=1
                                        ; =>  This Inner Loop Header: Depth=2
	s_sleep 1
	global_store_dwordx2 v[2:3], v[10:11], off
	buffer_wbl2
	s_waitcnt vmcnt(0)
	global_atomic_cmpswap_x2 v[12:13], v27, v[8:11], s[6:7] offset:24 glc
	s_waitcnt vmcnt(0)
	v_cmp_eq_u64_e32 vcc, v[12:13], v[10:11]
	s_or_b64 s[4:5], vcc, s[4:5]
	v_pk_mov_b32 v[10:11], v[12:13], v[12:13] op_sel:[0,1]
	s_andn2_b64 exec, exec, s[4:5]
	s_cbranch_execnz .LBB6_1086
	s_branch .LBB6_998
.LBB6_1087:
	s_mov_b64 s[4:5], 0
	s_branch .LBB6_1089
.LBB6_1088:
	s_mov_b64 s[4:5], -1
.LBB6_1089:
	s_mov_b64 s[42:43], s[12:13]
	s_mov_b64 s[44:45], s[10:11]
	s_and_b64 vcc, exec, s[4:5]
	s_cbranch_vccz .LBB6_1116
; %bb.1090:
	v_readfirstlane_b32 s4, v31
	v_cmp_eq_u32_e64 s[4:5], s4, v31
	s_waitcnt vmcnt(0)
	v_pk_mov_b32 v[8:9], 0, 0
	s_and_saveexec_b64 s[8:9], s[4:5]
	s_cbranch_execz .LBB6_1096
; %bb.1091:
	v_mov_b32_e32 v2, 0
	global_load_dwordx2 v[6:7], v2, s[6:7] offset:24 glc
	s_waitcnt vmcnt(0)
	buffer_invl2
	buffer_wbinvl1_vol
	global_load_dwordx2 v[4:5], v2, s[6:7] offset:40
	global_load_dwordx2 v[8:9], v2, s[6:7]
	s_waitcnt vmcnt(1)
	v_and_b32_e32 v3, v4, v6
	v_and_b32_e32 v4, v5, v7
	v_mul_lo_u32 v4, v4, 24
	v_mul_hi_u32 v5, v3, 24
	v_mul_lo_u32 v3, v3, 24
	v_add_u32_e32 v5, v5, v4
	s_waitcnt vmcnt(0)
	v_add_co_u32_e32 v4, vcc, v8, v3
	v_addc_co_u32_e32 v5, vcc, v9, v5, vcc
	global_load_dwordx2 v[4:5], v[4:5], off glc
	s_waitcnt vmcnt(0)
	global_atomic_cmpswap_x2 v[8:9], v2, v[4:7], s[6:7] offset:24 glc
	s_waitcnt vmcnt(0)
	buffer_invl2
	buffer_wbinvl1_vol
	v_cmp_ne_u64_e32 vcc, v[8:9], v[6:7]
	s_and_saveexec_b64 s[10:11], vcc
	s_cbranch_execz .LBB6_1095
; %bb.1092:
	s_mov_b64 s[12:13], 0
.LBB6_1093:                             ; =>This Inner Loop Header: Depth=1
	s_sleep 1
	global_load_dwordx2 v[4:5], v2, s[6:7] offset:40
	global_load_dwordx2 v[10:11], v2, s[6:7]
	v_pk_mov_b32 v[6:7], v[8:9], v[8:9] op_sel:[0,1]
	s_waitcnt vmcnt(1)
	v_and_b32_e32 v4, v4, v6
	v_and_b32_e32 v3, v5, v7
	s_waitcnt vmcnt(0)
	v_mad_u64_u32 v[4:5], s[14:15], v4, 24, v[10:11]
	v_mov_b32_e32 v8, v5
	v_mad_u64_u32 v[8:9], s[14:15], v3, 24, v[8:9]
	v_mov_b32_e32 v5, v8
	global_load_dwordx2 v[4:5], v[4:5], off glc
	s_waitcnt vmcnt(0)
	global_atomic_cmpswap_x2 v[8:9], v2, v[4:7], s[6:7] offset:24 glc
	s_waitcnt vmcnt(0)
	buffer_invl2
	buffer_wbinvl1_vol
	v_cmp_eq_u64_e32 vcc, v[8:9], v[6:7]
	s_or_b64 s[12:13], vcc, s[12:13]
	s_andn2_b64 exec, exec, s[12:13]
	s_cbranch_execnz .LBB6_1093
; %bb.1094:
	s_or_b64 exec, exec, s[12:13]
.LBB6_1095:
	s_or_b64 exec, exec, s[10:11]
.LBB6_1096:
	s_or_b64 exec, exec, s[8:9]
	v_mov_b32_e32 v2, 0
	global_load_dwordx2 v[10:11], v2, s[6:7] offset:40
	global_load_dwordx4 v[4:7], v2, s[6:7]
	v_readfirstlane_b32 s8, v8
	v_readfirstlane_b32 s9, v9
	s_mov_b64 s[10:11], exec
	s_waitcnt vmcnt(1)
	v_readfirstlane_b32 s12, v10
	v_readfirstlane_b32 s13, v11
	s_and_b64 s[12:13], s[8:9], s[12:13]
	s_mul_i32 s14, s13, 24
	s_mul_hi_u32 s15, s12, 24
	s_mul_i32 s16, s12, 24
	s_add_i32 s14, s15, s14
	v_mov_b32_e32 v3, s14
	s_waitcnt vmcnt(0)
	v_add_co_u32_e32 v8, vcc, s16, v4
	v_addc_co_u32_e32 v9, vcc, v5, v3, vcc
	s_and_saveexec_b64 s[14:15], s[4:5]
	s_cbranch_execz .LBB6_1098
; %bb.1097:
	v_pk_mov_b32 v[10:11], s[10:11], s[10:11] op_sel:[0,1]
	v_mov_b32_e32 v12, 2
	v_mov_b32_e32 v13, 1
	global_store_dwordx4 v[8:9], v[10:13], off offset:8
.LBB6_1098:
	s_or_b64 exec, exec, s[14:15]
	s_lshl_b64 s[10:11], s[12:13], 12
	v_mov_b32_e32 v3, s11
	v_add_co_u32_e32 v6, vcc, s10, v6
	v_addc_co_u32_e32 v7, vcc, v7, v3, vcc
	s_movk_i32 s10, 0xff1d
	s_mov_b32 s12, 0
	v_and_or_b32 v0, v0, s10, 34
	v_mov_b32_e32 v3, v2
	v_readfirstlane_b32 s10, v6
	v_readfirstlane_b32 s11, v7
	s_mov_b32 s13, s12
	s_mov_b32 s14, s12
	;; [unrolled: 1-line block ×3, first 2 shown]
	s_nop 1
	global_store_dwordx4 v30, v[0:3], s[10:11]
	s_nop 0
	v_pk_mov_b32 v[0:1], s[12:13], s[12:13] op_sel:[0,1]
	v_pk_mov_b32 v[2:3], s[14:15], s[14:15] op_sel:[0,1]
	global_store_dwordx4 v30, v[0:3], s[10:11] offset:16
	global_store_dwordx4 v30, v[0:3], s[10:11] offset:32
	;; [unrolled: 1-line block ×3, first 2 shown]
	s_and_saveexec_b64 s[10:11], s[4:5]
	s_cbranch_execz .LBB6_1106
; %bb.1099:
	v_mov_b32_e32 v6, 0
	global_load_dwordx2 v[12:13], v6, s[6:7] offset:32 glc
	global_load_dwordx2 v[0:1], v6, s[6:7] offset:40
	v_mov_b32_e32 v10, s8
	v_mov_b32_e32 v11, s9
	s_waitcnt vmcnt(0)
	v_readfirstlane_b32 s12, v0
	v_readfirstlane_b32 s13, v1
	s_and_b64 s[12:13], s[12:13], s[8:9]
	s_mul_i32 s13, s13, 24
	s_mul_hi_u32 s14, s12, 24
	s_mul_i32 s12, s12, 24
	s_add_i32 s13, s14, s13
	v_mov_b32_e32 v0, s13
	v_add_co_u32_e32 v4, vcc, s12, v4
	v_addc_co_u32_e32 v5, vcc, v5, v0, vcc
	global_store_dwordx2 v[4:5], v[12:13], off
	buffer_wbl2
	s_waitcnt vmcnt(0)
	global_atomic_cmpswap_x2 v[2:3], v6, v[10:13], s[6:7] offset:32 glc
	s_waitcnt vmcnt(0)
	v_cmp_ne_u64_e32 vcc, v[2:3], v[12:13]
	s_and_saveexec_b64 s[12:13], vcc
	s_cbranch_execz .LBB6_1102
; %bb.1100:
	s_mov_b64 s[14:15], 0
.LBB6_1101:                             ; =>This Inner Loop Header: Depth=1
	s_sleep 1
	global_store_dwordx2 v[4:5], v[2:3], off
	v_mov_b32_e32 v0, s8
	v_mov_b32_e32 v1, s9
	buffer_wbl2
	s_waitcnt vmcnt(0)
	global_atomic_cmpswap_x2 v[0:1], v6, v[0:3], s[6:7] offset:32 glc
	s_waitcnt vmcnt(0)
	v_cmp_eq_u64_e32 vcc, v[0:1], v[2:3]
	s_or_b64 s[14:15], vcc, s[14:15]
	v_pk_mov_b32 v[2:3], v[0:1], v[0:1] op_sel:[0,1]
	s_andn2_b64 exec, exec, s[14:15]
	s_cbranch_execnz .LBB6_1101
.LBB6_1102:
	s_or_b64 exec, exec, s[12:13]
	v_mov_b32_e32 v3, 0
	global_load_dwordx2 v[0:1], v3, s[6:7] offset:16
	s_mov_b64 s[12:13], exec
	v_mbcnt_lo_u32_b32 v2, s12, 0
	v_mbcnt_hi_u32_b32 v2, s13, v2
	v_cmp_eq_u32_e32 vcc, 0, v2
	s_and_saveexec_b64 s[14:15], vcc
	s_cbranch_execz .LBB6_1104
; %bb.1103:
	s_bcnt1_i32_b64 s12, s[12:13]
	v_mov_b32_e32 v2, s12
	buffer_wbl2
	s_waitcnt vmcnt(0)
	global_atomic_add_x2 v[0:1], v[2:3], off offset:8
.LBB6_1104:
	s_or_b64 exec, exec, s[14:15]
	s_waitcnt vmcnt(0)
	global_load_dwordx2 v[2:3], v[0:1], off offset:16
	s_waitcnt vmcnt(0)
	v_cmp_eq_u64_e32 vcc, 0, v[2:3]
	s_cbranch_vccnz .LBB6_1106
; %bb.1105:
	global_load_dword v0, v[0:1], off offset:24
	v_mov_b32_e32 v1, 0
	buffer_wbl2
	s_waitcnt vmcnt(0)
	global_store_dwordx2 v[2:3], v[0:1], off
	v_and_b32_e32 v0, 0xffffff, v0
	v_readfirstlane_b32 m0, v0
	s_sendmsg sendmsg(MSG_INTERRUPT)
.LBB6_1106:
	s_or_b64 exec, exec, s[10:11]
	s_branch .LBB6_1108
.LBB6_1107:
	s_branch .LBB6_1112
.LBB6_1108:                             ; =>This Inner Loop Header: Depth=1
	v_mov_b32_e32 v0, 1
	s_and_saveexec_b64 s[10:11], s[4:5]
	s_cbranch_execz .LBB6_1110
; %bb.1109:                             ;   in Loop: Header=BB6_1108 Depth=1
	global_load_dword v0, v[8:9], off offset:20 glc
	s_waitcnt vmcnt(0)
	buffer_invl2
	buffer_wbinvl1_vol
	v_and_b32_e32 v0, 1, v0
.LBB6_1110:                             ;   in Loop: Header=BB6_1108 Depth=1
	s_or_b64 exec, exec, s[10:11]
	v_readfirstlane_b32 s10, v0
	s_cmp_eq_u32 s10, 0
	s_cbranch_scc1 .LBB6_1107
; %bb.1111:                             ;   in Loop: Header=BB6_1108 Depth=1
	s_sleep 1
	s_cbranch_execnz .LBB6_1108
.LBB6_1112:
	s_and_saveexec_b64 s[10:11], s[4:5]
	s_cbranch_execz .LBB6_1115
; %bb.1113:
	v_mov_b32_e32 v6, 0
	global_load_dwordx2 v[4:5], v6, s[6:7] offset:40
	global_load_dwordx2 v[8:9], v6, s[6:7] offset:24 glc
	global_load_dwordx2 v[10:11], v6, s[6:7]
	v_mov_b32_e32 v1, s9
	s_mov_b64 s[4:5], 0
	s_waitcnt vmcnt(2)
	v_add_co_u32_e32 v3, vcc, 1, v4
	v_addc_co_u32_e32 v7, vcc, 0, v5, vcc
	v_add_co_u32_e32 v0, vcc, s8, v3
	v_addc_co_u32_e32 v1, vcc, v7, v1, vcc
	v_cmp_eq_u64_e32 vcc, 0, v[0:1]
	v_cndmask_b32_e32 v1, v1, v7, vcc
	v_cndmask_b32_e32 v0, v0, v3, vcc
	v_and_b32_e32 v3, v1, v5
	v_and_b32_e32 v4, v0, v4
	v_mul_lo_u32 v3, v3, 24
	v_mul_hi_u32 v5, v4, 24
	v_mul_lo_u32 v4, v4, 24
	v_add_u32_e32 v3, v5, v3
	s_waitcnt vmcnt(0)
	v_add_co_u32_e32 v4, vcc, v10, v4
	v_addc_co_u32_e32 v5, vcc, v11, v3, vcc
	v_mov_b32_e32 v2, v8
	global_store_dwordx2 v[4:5], v[8:9], off
	v_mov_b32_e32 v3, v9
	buffer_wbl2
	s_waitcnt vmcnt(0)
	global_atomic_cmpswap_x2 v[2:3], v6, v[0:3], s[6:7] offset:24 glc
	s_waitcnt vmcnt(0)
	v_cmp_ne_u64_e32 vcc, v[2:3], v[8:9]
	s_and_b64 exec, exec, vcc
	s_cbranch_execz .LBB6_1115
.LBB6_1114:                             ; =>This Inner Loop Header: Depth=1
	s_sleep 1
	global_store_dwordx2 v[4:5], v[2:3], off
	buffer_wbl2
	s_waitcnt vmcnt(0)
	global_atomic_cmpswap_x2 v[8:9], v6, v[0:3], s[6:7] offset:24 glc
	s_waitcnt vmcnt(0)
	v_cmp_eq_u64_e32 vcc, v[8:9], v[2:3]
	s_or_b64 s[4:5], vcc, s[4:5]
	v_pk_mov_b32 v[2:3], v[8:9], v[8:9] op_sel:[0,1]
	s_andn2_b64 exec, exec, s[4:5]
	s_cbranch_execnz .LBB6_1114
.LBB6_1115:
	s_or_b64 exec, exec, s[10:11]
.LBB6_1116:
	s_getpc_b64 s[4:5]
	s_add_u32 s4, s4, .str.29@rel32@lo+4
	s_addc_u32 s5, s5, .str.29@rel32@hi+12
	s_getpc_b64 s[6:7]
	s_add_u32 s6, s6, .str.19@rel32@lo+4
	s_addc_u32 s7, s7, .str.19@rel32@hi+12
	s_getpc_b64 s[10:11]
	s_add_u32 s10, s10, __PRETTY_FUNCTION__._ZN7VecsMemIjLi8192EE5fetchEi@rel32@lo+4
	s_addc_u32 s11, s11, __PRETTY_FUNCTION__._ZN7VecsMemIjLi8192EE5fetchEi@rel32@hi+12
	s_mov_b64 s[8:9], s[48:49]
	s_waitcnt vmcnt(0)
	v_mov_b32_e32 v0, s4
	v_mov_b32_e32 v1, s5
	;; [unrolled: 1-line block ×7, first 2 shown]
	s_getpc_b64 s[12:13]
	s_add_u32 s12, s12, __assert_fail@rel32@lo+4
	s_addc_u32 s13, s13, __assert_fail@rel32@hi+12
	s_swappc_b64 s[30:31], s[12:13]
	v_accvgpr_read_b32 v21, a1
	v_accvgpr_read_b32 v23, a3
	;; [unrolled: 1-line block ×3, first 2 shown]
	s_or_b64 s[4:5], s[72:73], exec
	s_mov_b64 s[10:11], s[44:45]
	s_mov_b64 s[12:13], s[42:43]
	v_accvgpr_read_b32 v20, a0
	v_accvgpr_read_b32 v22, a2
	;; [unrolled: 1-line block ×3, first 2 shown]
.LBB6_1117:
	s_or_b64 exec, exec, s[40:41]
	s_andn2_b64 s[6:7], s[72:73], exec
	s_and_b64 s[4:5], s[4:5], exec
	s_or_b64 s[76:77], s[6:7], s[4:5]
	s_orn2_b64 s[8:9], s[26:27], exec
.LBB6_1118:
	s_or_b64 exec, exec, s[38:39]
	s_mov_b64 s[4:5], 0
	s_mov_b64 s[6:7], s[10:11]
                                        ; implicit-def: $vgpr40
	s_and_saveexec_b64 s[78:79], s[8:9]
	s_cbranch_execz .LBB6_1538
; %bb.1119:
	s_mov_b32 s14, 0
	v_cmp_lt_i32_e32 vcc, 0, v44
	buffer_store_dword v47, off, s[0:3], s33 offset:140
	buffer_store_dword v46, off, s[0:3], s33 offset:136
	s_and_saveexec_b64 s[6:7], vcc
	s_cbranch_execz .LBB6_1122
; %bb.1120:
	v_lshrrev_b32_e64 v1, 6, s33
	v_lshrrev_b32_e64 v2, 6, s33
	v_not_b32_e32 v0, v57
	s_mov_b64 s[8:9], 0
	v_add_u32_e32 v1, 0x80, v1
	v_add_u32_e32 v2, 0x70, v2
.LBB6_1121:                             ; =>This Inner Loop Header: Depth=1
	flat_load_dword v3, v[58:59]
	s_add_i32 s14, s14, 1
	s_waitcnt vmcnt(0) lgkmcnt(0)
	v_and_b32_e32 v4, v3, v57
	v_cmp_eq_u32_e32 vcc, 0, v4
	v_cndmask_b32_e32 v6, v2, v1, vcc
	buffer_load_dword v4, v6, s[0:3], 0 offen offset:4
	v_cndmask_b32_e64 v5, v0, -1, vcc
	v_and_b32_e32 v3, v5, v3
	v_cndmask_b32_e32 v8, v42, v46, vcc
	v_cndmask_b32_e32 v7, v43, v47, vcc
	s_waitcnt vmcnt(0)
	v_ashrrev_i32_e32 v5, 31, v4
	v_add_u32_e32 v9, 1, v4
	v_lshlrev_b64 v[4:5], 2, v[4:5]
	v_add_co_u32_e32 v4, vcc, v8, v4
	v_addc_co_u32_e32 v5, vcc, v7, v5, vcc
	buffer_store_dword v9, v6, s[0:3], 0 offen offset:4
	flat_store_dword v[4:5], v3
	flat_load_dword v3, v[24:25] offset:4
	v_add_co_u32_e32 v58, vcc, 4, v58
	v_addc_co_u32_e32 v59, vcc, 0, v59, vcc
	s_waitcnt vmcnt(0) lgkmcnt(0)
	v_cmp_ge_i32_e64 s[4:5], s14, v3
	s_or_b64 s[8:9], s[4:5], s[8:9]
	s_andn2_b64 exec, exec, s[8:9]
	s_cbranch_execnz .LBB6_1121
.LBB6_1122:
	v_writelane_b32 v62, s12, 0
	v_writelane_b32 v62, s13, 1
	;; [unrolled: 1-line block ×10, first 2 shown]
	s_or_b64 exec, exec, s[6:7]
	flat_load_dword v0, v[54:55]
	s_mov_b64 s[8:9], s[48:49]
	v_mov_b32_e32 v1, 0
	v_mov_b32_e32 v2, v41
	;; [unrolled: 1-line block ×4, first 2 shown]
	v_pk_mov_b32 v[58:59], v[22:23], v[22:23] op_sel:[0,1]
	s_mov_b64 s[66:67], src_private_base
	s_getpc_b64 s[4:5]
	s_add_u32 s4, s4, _ZN3sop23sopFactorTrivialCubeRecEjiiPN8subgUtil4SubgILi256EEE@rel32@lo+4
	s_addc_u32 s5, s5, _ZN3sop23sopFactorTrivialCubeRecEjiiPN8subgUtil4SubgILi256EEE@rel32@hi+12
	v_pk_mov_b32 v[56:57], v[20:21], v[20:21] op_sel:[0,1]
	s_swappc_b64 s[30:31], s[4:5]
	v_mov_b32_e32 v42, v0
	v_lshrrev_b32_e64 v0, 6, s33
	v_pk_mov_b32 v[4:5], v[58:59], v[58:59] op_sel:[0,1]
	s_mov_b64 s[8:9], s[48:49]
	v_add_u32_e32 v0, 0x70, v0
	v_mov_b32_e32 v1, s67
	v_mov_b32_e32 v2, v41
	;; [unrolled: 1-line block ×6, first 2 shown]
	s_getpc_b64 s[4:5]
	s_add_u32 s4, s4, _ZN3sop12sopFactorRecEPNS_3SopEiP7VecsMemIjLi8192EEPN8subgUtil4SubgILi256EEE@rel32@lo+4
	s_addc_u32 s5, s5, _ZN3sop12sopFactorRecEPNS_3SopEiP7VecsMemIjLi8192EEPN8subgUtil4SubgILi256EEE@rel32@hi+12
	s_swappc_b64 s[30:31], s[4:5]
	flat_load_dword v2, v[56:57]
	s_movk_i32 s4, 0xff
	v_pk_mov_b32 v[8:9], v[56:57], v[56:57] op_sel:[0,1]
	s_mov_b64 s[38:39], s[76:77]
	s_waitcnt vmcnt(0) lgkmcnt(0)
	v_cmp_lt_i32_e32 vcc, s4, v2
	s_and_saveexec_b64 s[4:5], vcc
	s_xor_b64 s[26:27], exec, s[4:5]
	s_cbranch_execz .LBB6_1124
; %bb.1123:
	s_getpc_b64 s[4:5]
	s_add_u32 s4, s4, .str.43@rel32@lo+4
	s_addc_u32 s5, s5, .str.43@rel32@hi+12
	s_getpc_b64 s[6:7]
	s_add_u32 s6, s6, .str.44@rel32@lo+4
	s_addc_u32 s7, s7, .str.44@rel32@hi+12
	s_getpc_b64 s[10:11]
	s_add_u32 s10, s10, __PRETTY_FUNCTION__._ZN8subgUtil4SubgILi256EE10addNodeAndEii@rel32@lo+4
	s_addc_u32 s11, s11, __PRETTY_FUNCTION__._ZN8subgUtil4SubgILi256EE10addNodeAndEii@rel32@hi+12
	s_mov_b64 s[8:9], s[48:49]
	v_mov_b32_e32 v0, s4
	v_mov_b32_e32 v1, s5
	;; [unrolled: 1-line block ×7, first 2 shown]
	s_getpc_b64 s[12:13]
	s_add_u32 s12, s12, __assert_fail@rel32@lo+4
	s_addc_u32 s13, s13, __assert_fail@rel32@hi+12
	s_swappc_b64 s[30:31], s[12:13]
	s_or_b64 s[38:39], s[76:77], exec
                                        ; implicit-def: $vgpr2
                                        ; implicit-def: $vgpr42
                                        ; implicit-def: $vgpr0
                                        ; implicit-def: $vgpr8_vgpr9
                                        ; implicit-def: $vgpr41
                                        ; implicit-def: $vgpr58
.LBB6_1124:
	s_or_saveexec_b64 s[40:41], s[26:27]
	v_readlane_b32 s10, v62, 2
	v_readlane_b32 s11, v62, 3
	;; [unrolled: 1-line block ×6, first 2 shown]
	s_mov_b64 s[4:5], 0
	s_mov_b64 s[6:7], s[10:11]
	v_readlane_b32 s35, v62, 9
	v_readlane_b32 s37, v62, 7
	;; [unrolled: 1-line block ×4, first 2 shown]
                                        ; implicit-def: $vgpr40
	s_xor_b64 exec, exec, s[40:41]
	s_cbranch_execz .LBB6_1537
; %bb.1125:
	v_or_b32_e32 v1, v0, v42
	v_cmp_lt_i32_e32 vcc, -1, v1
	s_mov_b64 s[4:5], -1
	s_mov_b64 s[6:7], s[10:11]
	s_mov_b64 s[8:9], s[38:39]
                                        ; implicit-def: $vgpr40
	s_and_saveexec_b64 s[42:43], vcc
	s_cbranch_execz .LBB6_1536
; %bb.1126:
	buffer_load_dword v4, off, s[0:3], s33 offset:132
	v_ashrrev_i32_e32 v3, 31, v2
	v_add_u32_e32 v5, 1, v2
	v_lshlrev_b32_e32 v40, 1, v2
	v_lshlrev_b64 v[2:3], 3, v[2:3]
	v_add_co_u32_e32 v2, vcc, v8, v2
	v_min_i32_e32 v1, v42, v0
	v_max_i32_e32 v0, v42, v0
	v_addc_co_u32_e32 v3, vcc, v9, v3, vcc
	s_mov_b64 s[6:7], -1
	v_lshlrev_b32_e32 v0, 1, v0
	s_mov_b64 s[4:5], s[38:39]
	flat_store_dword v[8:9], v5
	flat_store_dwordx2 v[2:3], v[0:1] offset:8
	s_waitcnt vmcnt(0)
	v_cmp_ne_u32_e32 vcc, 0, v4
	s_and_saveexec_b64 s[44:45], vcc
	s_cbranch_execz .LBB6_1533
; %bb.1127:
	s_mov_b64 s[4:5], src_private_base
	v_lshrrev_b32_e64 v0, 6, s33
	s_mov_b64 s[8:9], s[48:49]
	v_add_u32_e32 v0, 0x80, v0
	v_mov_b32_e32 v1, s5
	v_mov_b32_e32 v2, v41
	;; [unrolled: 1-line block ×6, first 2 shown]
	s_getpc_b64 s[6:7]
	s_add_u32 s6, s6, _ZN3sop12sopFactorRecEPNS_3SopEiP7VecsMemIjLi8192EEPN8subgUtil4SubgILi256EEE@rel32@lo+4
	s_addc_u32 s7, s7, _ZN3sop12sopFactorRecEPNS_3SopEiP7VecsMemIjLi8192EEPN8subgUtil4SubgILi256EEE@rel32@hi+12
	v_pk_mov_b32 v[42:43], v[8:9], v[8:9] op_sel:[0,1]
	s_swappc_b64 s[30:31], s[6:7]
	flat_load_dword v1, v[42:43]
	s_movk_i32 s4, 0xff
	v_pk_mov_b32 v[50:51], v[42:43], v[42:43] op_sel:[0,1]
	s_mov_b64 s[26:27], s[38:39]
	s_waitcnt vmcnt(0) lgkmcnt(0)
	v_cmp_lt_i32_e32 vcc, s4, v1
	s_and_saveexec_b64 s[4:5], vcc
	s_xor_b64 s[28:29], exec, s[4:5]
	s_cbranch_execz .LBB6_1129
; %bb.1128:
	s_getpc_b64 s[4:5]
	s_add_u32 s4, s4, .str.43@rel32@lo+4
	s_addc_u32 s5, s5, .str.43@rel32@hi+12
	s_getpc_b64 s[6:7]
	s_add_u32 s6, s6, .str.44@rel32@lo+4
	s_addc_u32 s7, s7, .str.44@rel32@hi+12
	s_getpc_b64 s[10:11]
	s_add_u32 s10, s10, __PRETTY_FUNCTION__._ZN8subgUtil4SubgILi256EE9addNodeOrEii@rel32@lo+4
	s_addc_u32 s11, s11, __PRETTY_FUNCTION__._ZN8subgUtil4SubgILi256EE9addNodeOrEii@rel32@hi+12
	s_mov_b64 s[8:9], s[48:49]
	v_mov_b32_e32 v0, s4
	v_mov_b32_e32 v1, s5
	;; [unrolled: 1-line block ×7, first 2 shown]
	s_getpc_b64 s[12:13]
	s_add_u32 s12, s12, __assert_fail@rel32@lo+4
	s_addc_u32 s13, s13, __assert_fail@rel32@hi+12
	s_swappc_b64 s[30:31], s[12:13]
	s_or_b64 s[26:27], s[38:39], exec
                                        ; implicit-def: $vgpr0
                                        ; implicit-def: $vgpr40
                                        ; implicit-def: $vgpr50_vgpr51
.LBB6_1129:
	s_or_saveexec_b64 s[28:29], s[28:29]
	s_mov_b64 s[6:7], 0
	s_xor_b64 exec, exec, s[28:29]
	s_cbranch_execz .LBB6_1532
; %bb.1130:
	v_max_i32_e32 v4, v40, v0
	v_min_i32_e32 v48, v40, v0
	v_xor_b32_e32 v1, 1, v48
	v_xor_b32_e32 v38, 1, v4
	v_cmp_gt_i32_e64 s[4:5], v1, v38
	s_and_saveexec_b64 s[8:9], s[4:5]
	s_cbranch_execz .LBB6_1527
; %bb.1131:
	s_load_dwordx2 s[10:11], s[48:49], 0x50
	v_mbcnt_lo_u32_b32 v2, -1, 0
	v_mbcnt_hi_u32_b32 v5, -1, v2
	v_readfirstlane_b32 s6, v5
	v_cmp_eq_u32_e64 s[6:7], s6, v5
	v_pk_mov_b32 v[2:3], 0, 0
	s_and_saveexec_b64 s[12:13], s[6:7]
	s_cbranch_execz .LBB6_1137
; %bb.1132:
	v_mov_b32_e32 v6, 0
	s_waitcnt lgkmcnt(0)
	global_load_dwordx2 v[10:11], v6, s[10:11] offset:24 glc
	s_waitcnt vmcnt(0)
	buffer_invl2
	buffer_wbinvl1_vol
	global_load_dwordx2 v[2:3], v6, s[10:11] offset:40
	global_load_dwordx2 v[8:9], v6, s[10:11]
	s_waitcnt vmcnt(1)
	v_and_b32_e32 v2, v2, v10
	v_and_b32_e32 v3, v3, v11
	v_mul_lo_u32 v3, v3, 24
	v_mul_hi_u32 v7, v2, 24
	v_mul_lo_u32 v2, v2, 24
	v_add_u32_e32 v3, v7, v3
	s_waitcnt vmcnt(0)
	v_add_co_u32_e32 v2, vcc, v8, v2
	v_addc_co_u32_e32 v3, vcc, v9, v3, vcc
	global_load_dwordx2 v[8:9], v[2:3], off glc
	s_waitcnt vmcnt(0)
	global_atomic_cmpswap_x2 v[2:3], v6, v[8:11], s[10:11] offset:24 glc
	s_waitcnt vmcnt(0)
	buffer_invl2
	buffer_wbinvl1_vol
	v_cmp_ne_u64_e32 vcc, v[2:3], v[10:11]
	s_and_saveexec_b64 s[14:15], vcc
	s_cbranch_execz .LBB6_1136
; %bb.1133:
	s_mov_b64 s[16:17], 0
.LBB6_1134:                             ; =>This Inner Loop Header: Depth=1
	s_sleep 1
	global_load_dwordx2 v[8:9], v6, s[10:11] offset:40
	global_load_dwordx2 v[12:13], v6, s[10:11]
	v_pk_mov_b32 v[10:11], v[2:3], v[2:3] op_sel:[0,1]
	s_waitcnt vmcnt(1)
	v_and_b32_e32 v2, v8, v10
	s_waitcnt vmcnt(0)
	v_mad_u64_u32 v[2:3], s[18:19], v2, 24, v[12:13]
	v_and_b32_e32 v7, v9, v11
	v_mov_b32_e32 v8, v3
	v_mad_u64_u32 v[8:9], s[18:19], v7, 24, v[8:9]
	v_mov_b32_e32 v3, v8
	global_load_dwordx2 v[8:9], v[2:3], off glc
	s_waitcnt vmcnt(0)
	global_atomic_cmpswap_x2 v[2:3], v6, v[8:11], s[10:11] offset:24 glc
	s_waitcnt vmcnt(0)
	buffer_invl2
	buffer_wbinvl1_vol
	v_cmp_eq_u64_e32 vcc, v[2:3], v[10:11]
	s_or_b64 s[16:17], vcc, s[16:17]
	s_andn2_b64 exec, exec, s[16:17]
	s_cbranch_execnz .LBB6_1134
; %bb.1135:
	s_or_b64 exec, exec, s[16:17]
.LBB6_1136:
	s_or_b64 exec, exec, s[14:15]
.LBB6_1137:
	s_or_b64 exec, exec, s[12:13]
	v_mov_b32_e32 v11, 0
	s_waitcnt lgkmcnt(0)
	global_load_dwordx2 v[12:13], v11, s[10:11] offset:40
	global_load_dwordx4 v[6:9], v11, s[10:11]
	v_readfirstlane_b32 s12, v2
	v_readfirstlane_b32 s13, v3
	s_mov_b64 s[14:15], exec
	s_waitcnt vmcnt(1)
	v_readfirstlane_b32 s16, v12
	v_readfirstlane_b32 s17, v13
	s_and_b64 s[16:17], s[12:13], s[16:17]
	s_mul_i32 s18, s17, 24
	s_mul_hi_u32 s19, s16, 24
	s_mul_i32 s20, s16, 24
	s_add_i32 s18, s19, s18
	v_mov_b32_e32 v3, s18
	s_waitcnt vmcnt(0)
	v_add_co_u32_e32 v2, vcc, s20, v6
	v_addc_co_u32_e32 v3, vcc, v7, v3, vcc
	s_and_saveexec_b64 s[18:19], s[6:7]
	s_cbranch_execz .LBB6_1139
; %bb.1138:
	v_pk_mov_b32 v[12:13], s[14:15], s[14:15] op_sel:[0,1]
	v_mov_b32_e32 v14, 2
	v_mov_b32_e32 v15, 1
	global_store_dwordx4 v[2:3], v[12:15], off offset:8
.LBB6_1139:
	s_or_b64 exec, exec, s[18:19]
	s_lshl_b64 s[14:15], s[16:17], 12
	v_mov_b32_e32 v10, s15
	v_add_co_u32_e32 v8, vcc, s14, v8
	v_addc_co_u32_e32 v9, vcc, v9, v10, vcc
	s_mov_b32 s16, 0
	v_lshlrev_b32_e32 v39, 6, v5
	v_add_co_u32_e32 v14, vcc, v8, v39
	v_mov_b32_e32 v10, 33
	v_mov_b32_e32 v12, v11
	;; [unrolled: 1-line block ×3, first 2 shown]
	v_readfirstlane_b32 s14, v8
	v_readfirstlane_b32 s15, v9
	s_mov_b32 s17, s16
	v_addc_co_u32_e32 v15, vcc, 0, v9, vcc
	s_mov_b32 s18, s16
	s_mov_b32 s19, s16
	s_nop 0
	global_store_dwordx4 v39, v[10:13], s[14:15]
	v_pk_mov_b32 v[8:9], s[16:17], s[16:17] op_sel:[0,1]
	v_pk_mov_b32 v[10:11], s[18:19], s[18:19] op_sel:[0,1]
	global_store_dwordx4 v39, v[8:11], s[14:15] offset:16
	global_store_dwordx4 v39, v[8:11], s[14:15] offset:32
	;; [unrolled: 1-line block ×3, first 2 shown]
	s_and_saveexec_b64 s[14:15], s[6:7]
	s_cbranch_execz .LBB6_1147
; %bb.1140:
	v_mov_b32_e32 v12, 0
	global_load_dwordx2 v[18:19], v12, s[10:11] offset:32 glc
	global_load_dwordx2 v[8:9], v12, s[10:11] offset:40
	v_mov_b32_e32 v16, s12
	v_mov_b32_e32 v17, s13
	s_waitcnt vmcnt(0)
	v_and_b32_e32 v8, s12, v8
	v_and_b32_e32 v9, s13, v9
	v_mul_lo_u32 v9, v9, 24
	v_mul_hi_u32 v10, v8, 24
	v_mul_lo_u32 v8, v8, 24
	v_add_u32_e32 v9, v10, v9
	v_add_co_u32_e32 v10, vcc, v6, v8
	v_addc_co_u32_e32 v11, vcc, v7, v9, vcc
	global_store_dwordx2 v[10:11], v[18:19], off
	buffer_wbl2
	s_waitcnt vmcnt(0)
	global_atomic_cmpswap_x2 v[8:9], v12, v[16:19], s[10:11] offset:32 glc
	s_waitcnt vmcnt(0)
	v_cmp_ne_u64_e32 vcc, v[8:9], v[18:19]
	s_and_saveexec_b64 s[16:17], vcc
	s_cbranch_execz .LBB6_1143
; %bb.1141:
	s_mov_b64 s[18:19], 0
.LBB6_1142:                             ; =>This Inner Loop Header: Depth=1
	s_sleep 1
	global_store_dwordx2 v[10:11], v[8:9], off
	v_mov_b32_e32 v6, s12
	v_mov_b32_e32 v7, s13
	buffer_wbl2
	s_waitcnt vmcnt(0)
	global_atomic_cmpswap_x2 v[6:7], v12, v[6:9], s[10:11] offset:32 glc
	s_waitcnt vmcnt(0)
	v_cmp_eq_u64_e32 vcc, v[6:7], v[8:9]
	s_or_b64 s[18:19], vcc, s[18:19]
	v_pk_mov_b32 v[8:9], v[6:7], v[6:7] op_sel:[0,1]
	s_andn2_b64 exec, exec, s[18:19]
	s_cbranch_execnz .LBB6_1142
.LBB6_1143:
	s_or_b64 exec, exec, s[16:17]
	v_mov_b32_e32 v9, 0
	global_load_dwordx2 v[6:7], v9, s[10:11] offset:16
	s_mov_b64 s[16:17], exec
	v_mbcnt_lo_u32_b32 v8, s16, 0
	v_mbcnt_hi_u32_b32 v8, s17, v8
	v_cmp_eq_u32_e32 vcc, 0, v8
	s_and_saveexec_b64 s[18:19], vcc
	s_cbranch_execz .LBB6_1145
; %bb.1144:
	s_bcnt1_i32_b64 s16, s[16:17]
	v_mov_b32_e32 v8, s16
	buffer_wbl2
	s_waitcnt vmcnt(0)
	global_atomic_add_x2 v[6:7], v[8:9], off offset:8
.LBB6_1145:
	s_or_b64 exec, exec, s[18:19]
	s_waitcnt vmcnt(0)
	global_load_dwordx2 v[8:9], v[6:7], off offset:16
	s_waitcnt vmcnt(0)
	v_cmp_eq_u64_e32 vcc, 0, v[8:9]
	s_cbranch_vccnz .LBB6_1147
; %bb.1146:
	global_load_dword v6, v[6:7], off offset:24
	v_mov_b32_e32 v7, 0
	buffer_wbl2
	s_waitcnt vmcnt(0)
	global_store_dwordx2 v[8:9], v[6:7], off
	v_and_b32_e32 v6, 0xffffff, v6
	v_readfirstlane_b32 m0, v6
	s_sendmsg sendmsg(MSG_INTERRUPT)
.LBB6_1147:
	s_or_b64 exec, exec, s[14:15]
	s_branch .LBB6_1149
.LBB6_1148:
	s_branch .LBB6_1153
.LBB6_1149:                             ; =>This Inner Loop Header: Depth=1
	v_mov_b32_e32 v6, 1
	s_and_saveexec_b64 s[14:15], s[6:7]
	s_cbranch_execz .LBB6_1151
; %bb.1150:                             ;   in Loop: Header=BB6_1149 Depth=1
	global_load_dword v6, v[2:3], off offset:20 glc
	s_waitcnt vmcnt(0)
	buffer_invl2
	buffer_wbinvl1_vol
	v_and_b32_e32 v6, 1, v6
.LBB6_1151:                             ;   in Loop: Header=BB6_1149 Depth=1
	s_or_b64 exec, exec, s[14:15]
	v_readfirstlane_b32 s14, v6
	s_cmp_eq_u32 s14, 0
	s_cbranch_scc1 .LBB6_1148
; %bb.1152:                             ;   in Loop: Header=BB6_1149 Depth=1
	s_sleep 1
	s_cbranch_execnz .LBB6_1149
.LBB6_1153:
	global_load_dwordx2 v[6:7], v[14:15], off
	s_and_saveexec_b64 s[14:15], s[6:7]
	s_cbranch_execz .LBB6_1156
; %bb.1154:
	v_mov_b32_e32 v12, 0
	global_load_dwordx2 v[2:3], v12, s[10:11] offset:40
	global_load_dwordx2 v[14:15], v12, s[10:11] offset:24 glc
	global_load_dwordx2 v[16:17], v12, s[10:11]
	v_mov_b32_e32 v9, s13
	s_mov_b64 s[6:7], 0
	s_waitcnt vmcnt(2)
	v_add_co_u32_e32 v11, vcc, 1, v2
	v_addc_co_u32_e32 v13, vcc, 0, v3, vcc
	v_add_co_u32_e32 v8, vcc, s12, v11
	v_addc_co_u32_e32 v9, vcc, v13, v9, vcc
	v_cmp_eq_u64_e32 vcc, 0, v[8:9]
	v_cndmask_b32_e32 v9, v9, v13, vcc
	v_cndmask_b32_e32 v8, v8, v11, vcc
	v_and_b32_e32 v3, v9, v3
	v_and_b32_e32 v2, v8, v2
	v_mul_lo_u32 v3, v3, 24
	v_mul_hi_u32 v11, v2, 24
	v_mul_lo_u32 v2, v2, 24
	v_add_u32_e32 v3, v11, v3
	s_waitcnt vmcnt(0)
	v_add_co_u32_e32 v2, vcc, v16, v2
	v_addc_co_u32_e32 v3, vcc, v17, v3, vcc
	v_mov_b32_e32 v10, v14
	global_store_dwordx2 v[2:3], v[14:15], off
	v_mov_b32_e32 v11, v15
	buffer_wbl2
	s_waitcnt vmcnt(0)
	global_atomic_cmpswap_x2 v[10:11], v12, v[8:11], s[10:11] offset:24 glc
	s_waitcnt vmcnt(0)
	v_cmp_ne_u64_e32 vcc, v[10:11], v[14:15]
	s_and_b64 exec, exec, vcc
	s_cbranch_execz .LBB6_1156
.LBB6_1155:                             ; =>This Inner Loop Header: Depth=1
	s_sleep 1
	global_store_dwordx2 v[2:3], v[10:11], off
	buffer_wbl2
	s_waitcnt vmcnt(0)
	global_atomic_cmpswap_x2 v[14:15], v12, v[8:11], s[10:11] offset:24 glc
	s_waitcnt vmcnt(0)
	v_cmp_eq_u64_e32 vcc, v[14:15], v[10:11]
	s_or_b64 s[6:7], vcc, s[6:7]
	v_pk_mov_b32 v[10:11], v[14:15], v[14:15] op_sel:[0,1]
	s_andn2_b64 exec, exec, s[6:7]
	s_cbranch_execnz .LBB6_1155
.LBB6_1156:
	s_or_b64 exec, exec, s[14:15]
	s_getpc_b64 s[12:13]
	s_add_u32 s12, s12, .str.45@rel32@lo+4
	s_addc_u32 s13, s13, .str.45@rel32@hi+12
	s_cmp_lg_u64 s[12:13], 0
	s_cbranch_scc0 .LBB6_1449
; %bb.1157:
	s_waitcnt vmcnt(0)
	v_and_b32_e32 v2, 2, v6
	v_mov_b32_e32 v35, 0
	v_and_b32_e32 v8, -3, v6
	v_mov_b32_e32 v9, v7
	s_mov_b64 s[14:15], 7
	v_mov_b32_e32 v12, 2
	v_mov_b32_e32 v13, 1
	s_branch .LBB6_1159
.LBB6_1158:                             ;   in Loop: Header=BB6_1159 Depth=1
	s_or_b64 exec, exec, s[20:21]
	s_sub_u32 s14, s14, s16
	s_subb_u32 s15, s15, s17
	s_add_u32 s12, s12, s16
	s_addc_u32 s13, s13, s17
	s_cmp_lg_u64 s[14:15], 0
	s_cbranch_scc0 .LBB6_1448
.LBB6_1159:                             ; =>This Loop Header: Depth=1
                                        ;     Child Loop BB6_1162 Depth 2
                                        ;     Child Loop BB6_1170 Depth 2
	;; [unrolled: 1-line block ×11, first 2 shown]
	v_cmp_lt_u64_e64 s[6:7], s[14:15], 56
	s_and_b64 s[6:7], s[6:7], exec
	v_cmp_gt_u64_e64 s[6:7], s[14:15], 7
	s_cselect_b32 s17, s15, 0
	s_cselect_b32 s16, s14, 56
	s_and_b64 vcc, exec, s[6:7]
	s_cbranch_vccnz .LBB6_1164
; %bb.1160:                             ;   in Loop: Header=BB6_1159 Depth=1
	s_mov_b64 s[6:7], 0
	s_cmp_eq_u64 s[14:15], 0
	v_pk_mov_b32 v[16:17], 0, 0
	s_cbranch_scc1 .LBB6_1163
; %bb.1161:                             ;   in Loop: Header=BB6_1159 Depth=1
	s_lshl_b64 s[18:19], s[16:17], 3
	s_mov_b64 s[20:21], 0
	v_pk_mov_b32 v[16:17], 0, 0
	s_mov_b64 s[22:23], s[12:13]
.LBB6_1162:                             ;   Parent Loop BB6_1159 Depth=1
                                        ; =>  This Inner Loop Header: Depth=2
	global_load_ubyte v3, v35, s[22:23]
	s_waitcnt vmcnt(0)
	v_and_b32_e32 v34, 0xffff, v3
	v_lshlrev_b64 v[10:11], s20, v[34:35]
	s_add_u32 s20, s20, 8
	s_addc_u32 s21, s21, 0
	s_add_u32 s22, s22, 1
	s_addc_u32 s23, s23, 0
	v_or_b32_e32 v16, v10, v16
	s_cmp_lg_u32 s18, s20
	v_or_b32_e32 v17, v11, v17
	s_cbranch_scc1 .LBB6_1162
.LBB6_1163:                             ;   in Loop: Header=BB6_1159 Depth=1
	s_mov_b32 s22, 0
	s_branch .LBB6_1165
.LBB6_1164:                             ;   in Loop: Header=BB6_1159 Depth=1
	s_mov_b64 s[6:7], -1
                                        ; implicit-def: $vgpr16_vgpr17
                                        ; implicit-def: $sgpr22
.LBB6_1165:                             ;   in Loop: Header=BB6_1159 Depth=1
	s_andn2_b64 vcc, exec, s[6:7]
	s_mov_b64 s[6:7], s[12:13]
	s_cbranch_vccnz .LBB6_1167
; %bb.1166:                             ;   in Loop: Header=BB6_1159 Depth=1
	global_load_dwordx2 v[16:17], v35, s[12:13]
	s_add_i32 s22, s16, -8
	s_add_u32 s6, s12, 8
	s_addc_u32 s7, s13, 0
.LBB6_1167:                             ;   in Loop: Header=BB6_1159 Depth=1
	s_cmp_gt_u32 s22, 7
	s_cbranch_scc1 .LBB6_1171
; %bb.1168:                             ;   in Loop: Header=BB6_1159 Depth=1
	s_cmp_eq_u32 s22, 0
	s_cbranch_scc1 .LBB6_1172
; %bb.1169:                             ;   in Loop: Header=BB6_1159 Depth=1
	s_mov_b64 s[18:19], 0
	v_pk_mov_b32 v[18:19], 0, 0
	s_mov_b64 s[20:21], 0
.LBB6_1170:                             ;   Parent Loop BB6_1159 Depth=1
                                        ; =>  This Inner Loop Header: Depth=2
	s_add_u32 s24, s6, s20
	s_addc_u32 s25, s7, s21
	global_load_ubyte v3, v35, s[24:25]
	s_add_u32 s20, s20, 1
	s_addc_u32 s21, s21, 0
	s_waitcnt vmcnt(0)
	v_and_b32_e32 v34, 0xffff, v3
	v_lshlrev_b64 v[10:11], s18, v[34:35]
	s_add_u32 s18, s18, 8
	s_addc_u32 s19, s19, 0
	v_or_b32_e32 v18, v10, v18
	s_cmp_lg_u32 s22, s20
	v_or_b32_e32 v19, v11, v19
	s_cbranch_scc1 .LBB6_1170
	s_branch .LBB6_1173
.LBB6_1171:                             ;   in Loop: Header=BB6_1159 Depth=1
	s_mov_b64 s[18:19], -1
                                        ; implicit-def: $vgpr18_vgpr19
                                        ; implicit-def: $sgpr23
	s_branch .LBB6_1174
.LBB6_1172:                             ;   in Loop: Header=BB6_1159 Depth=1
	v_pk_mov_b32 v[18:19], 0, 0
.LBB6_1173:                             ;   in Loop: Header=BB6_1159 Depth=1
	s_mov_b64 s[18:19], 0
	s_mov_b32 s23, 0
.LBB6_1174:                             ;   in Loop: Header=BB6_1159 Depth=1
	s_andn2_b64 vcc, exec, s[18:19]
	s_cbranch_vccnz .LBB6_1176
; %bb.1175:                             ;   in Loop: Header=BB6_1159 Depth=1
	global_load_dwordx2 v[18:19], v35, s[6:7]
	s_add_i32 s23, s22, -8
	s_add_u32 s6, s6, 8
	s_addc_u32 s7, s7, 0
.LBB6_1176:                             ;   in Loop: Header=BB6_1159 Depth=1
	s_cmp_gt_u32 s23, 7
	s_cbranch_scc1 .LBB6_1180
; %bb.1177:                             ;   in Loop: Header=BB6_1159 Depth=1
	s_cmp_eq_u32 s23, 0
	s_cbranch_scc1 .LBB6_1181
; %bb.1178:                             ;   in Loop: Header=BB6_1159 Depth=1
	s_mov_b64 s[18:19], 0
	v_pk_mov_b32 v[20:21], 0, 0
	s_mov_b64 s[20:21], 0
.LBB6_1179:                             ;   Parent Loop BB6_1159 Depth=1
                                        ; =>  This Inner Loop Header: Depth=2
	s_add_u32 s24, s6, s20
	s_addc_u32 s25, s7, s21
	global_load_ubyte v3, v35, s[24:25]
	s_add_u32 s20, s20, 1
	s_addc_u32 s21, s21, 0
	s_waitcnt vmcnt(0)
	v_and_b32_e32 v34, 0xffff, v3
	v_lshlrev_b64 v[10:11], s18, v[34:35]
	s_add_u32 s18, s18, 8
	s_addc_u32 s19, s19, 0
	v_or_b32_e32 v20, v10, v20
	s_cmp_lg_u32 s23, s20
	v_or_b32_e32 v21, v11, v21
	s_cbranch_scc1 .LBB6_1179
	s_branch .LBB6_1182
.LBB6_1180:                             ;   in Loop: Header=BB6_1159 Depth=1
	s_mov_b64 s[18:19], -1
                                        ; implicit-def: $sgpr22
	s_branch .LBB6_1183
.LBB6_1181:                             ;   in Loop: Header=BB6_1159 Depth=1
	v_pk_mov_b32 v[20:21], 0, 0
.LBB6_1182:                             ;   in Loop: Header=BB6_1159 Depth=1
	s_mov_b64 s[18:19], 0
	s_mov_b32 s22, 0
.LBB6_1183:                             ;   in Loop: Header=BB6_1159 Depth=1
	s_andn2_b64 vcc, exec, s[18:19]
	s_cbranch_vccnz .LBB6_1185
; %bb.1184:                             ;   in Loop: Header=BB6_1159 Depth=1
	global_load_dwordx2 v[20:21], v35, s[6:7]
	s_add_i32 s22, s23, -8
	s_add_u32 s6, s6, 8
	s_addc_u32 s7, s7, 0
.LBB6_1185:                             ;   in Loop: Header=BB6_1159 Depth=1
	s_cmp_gt_u32 s22, 7
	s_cbranch_scc1 .LBB6_1189
; %bb.1186:                             ;   in Loop: Header=BB6_1159 Depth=1
	s_cmp_eq_u32 s22, 0
	s_cbranch_scc1 .LBB6_1190
; %bb.1187:                             ;   in Loop: Header=BB6_1159 Depth=1
	s_mov_b64 s[18:19], 0
	v_pk_mov_b32 v[22:23], 0, 0
	s_mov_b64 s[20:21], 0
.LBB6_1188:                             ;   Parent Loop BB6_1159 Depth=1
                                        ; =>  This Inner Loop Header: Depth=2
	s_add_u32 s24, s6, s20
	s_addc_u32 s25, s7, s21
	global_load_ubyte v3, v35, s[24:25]
	s_add_u32 s20, s20, 1
	s_addc_u32 s21, s21, 0
	s_waitcnt vmcnt(0)
	v_and_b32_e32 v34, 0xffff, v3
	v_lshlrev_b64 v[10:11], s18, v[34:35]
	s_add_u32 s18, s18, 8
	s_addc_u32 s19, s19, 0
	v_or_b32_e32 v22, v10, v22
	s_cmp_lg_u32 s22, s20
	v_or_b32_e32 v23, v11, v23
	s_cbranch_scc1 .LBB6_1188
	s_branch .LBB6_1191
.LBB6_1189:                             ;   in Loop: Header=BB6_1159 Depth=1
	s_mov_b64 s[18:19], -1
                                        ; implicit-def: $vgpr22_vgpr23
                                        ; implicit-def: $sgpr23
	s_branch .LBB6_1192
.LBB6_1190:                             ;   in Loop: Header=BB6_1159 Depth=1
	v_pk_mov_b32 v[22:23], 0, 0
.LBB6_1191:                             ;   in Loop: Header=BB6_1159 Depth=1
	s_mov_b64 s[18:19], 0
	s_mov_b32 s23, 0
.LBB6_1192:                             ;   in Loop: Header=BB6_1159 Depth=1
	s_andn2_b64 vcc, exec, s[18:19]
	s_cbranch_vccnz .LBB6_1194
; %bb.1193:                             ;   in Loop: Header=BB6_1159 Depth=1
	global_load_dwordx2 v[22:23], v35, s[6:7]
	s_add_i32 s23, s22, -8
	s_add_u32 s6, s6, 8
	s_addc_u32 s7, s7, 0
.LBB6_1194:                             ;   in Loop: Header=BB6_1159 Depth=1
	s_cmp_gt_u32 s23, 7
	s_cbranch_scc1 .LBB6_1198
; %bb.1195:                             ;   in Loop: Header=BB6_1159 Depth=1
	s_cmp_eq_u32 s23, 0
	s_cbranch_scc1 .LBB6_1199
; %bb.1196:                             ;   in Loop: Header=BB6_1159 Depth=1
	s_mov_b64 s[18:19], 0
	v_pk_mov_b32 v[24:25], 0, 0
	s_mov_b64 s[20:21], 0
.LBB6_1197:                             ;   Parent Loop BB6_1159 Depth=1
                                        ; =>  This Inner Loop Header: Depth=2
	s_add_u32 s24, s6, s20
	s_addc_u32 s25, s7, s21
	global_load_ubyte v3, v35, s[24:25]
	s_add_u32 s20, s20, 1
	s_addc_u32 s21, s21, 0
	s_waitcnt vmcnt(0)
	v_and_b32_e32 v34, 0xffff, v3
	v_lshlrev_b64 v[10:11], s18, v[34:35]
	s_add_u32 s18, s18, 8
	s_addc_u32 s19, s19, 0
	v_or_b32_e32 v24, v10, v24
	s_cmp_lg_u32 s23, s20
	v_or_b32_e32 v25, v11, v25
	s_cbranch_scc1 .LBB6_1197
	s_branch .LBB6_1200
.LBB6_1198:                             ;   in Loop: Header=BB6_1159 Depth=1
	s_mov_b64 s[18:19], -1
                                        ; implicit-def: $sgpr22
	s_branch .LBB6_1201
.LBB6_1199:                             ;   in Loop: Header=BB6_1159 Depth=1
	v_pk_mov_b32 v[24:25], 0, 0
.LBB6_1200:                             ;   in Loop: Header=BB6_1159 Depth=1
	s_mov_b64 s[18:19], 0
	s_mov_b32 s22, 0
.LBB6_1201:                             ;   in Loop: Header=BB6_1159 Depth=1
	s_andn2_b64 vcc, exec, s[18:19]
	s_cbranch_vccnz .LBB6_1203
; %bb.1202:                             ;   in Loop: Header=BB6_1159 Depth=1
	global_load_dwordx2 v[24:25], v35, s[6:7]
	s_add_i32 s22, s23, -8
	s_add_u32 s6, s6, 8
	s_addc_u32 s7, s7, 0
.LBB6_1203:                             ;   in Loop: Header=BB6_1159 Depth=1
	s_cmp_gt_u32 s22, 7
	s_cbranch_scc1 .LBB6_1207
; %bb.1204:                             ;   in Loop: Header=BB6_1159 Depth=1
	s_cmp_eq_u32 s22, 0
	s_cbranch_scc1 .LBB6_1208
; %bb.1205:                             ;   in Loop: Header=BB6_1159 Depth=1
	s_mov_b64 s[18:19], 0
	v_pk_mov_b32 v[26:27], 0, 0
	s_mov_b64 s[20:21], 0
.LBB6_1206:                             ;   Parent Loop BB6_1159 Depth=1
                                        ; =>  This Inner Loop Header: Depth=2
	s_add_u32 s24, s6, s20
	s_addc_u32 s25, s7, s21
	global_load_ubyte v3, v35, s[24:25]
	s_add_u32 s20, s20, 1
	s_addc_u32 s21, s21, 0
	s_waitcnt vmcnt(0)
	v_and_b32_e32 v34, 0xffff, v3
	v_lshlrev_b64 v[10:11], s18, v[34:35]
	s_add_u32 s18, s18, 8
	s_addc_u32 s19, s19, 0
	v_or_b32_e32 v26, v10, v26
	s_cmp_lg_u32 s22, s20
	v_or_b32_e32 v27, v11, v27
	s_cbranch_scc1 .LBB6_1206
	s_branch .LBB6_1209
.LBB6_1207:                             ;   in Loop: Header=BB6_1159 Depth=1
	s_mov_b64 s[18:19], -1
                                        ; implicit-def: $vgpr26_vgpr27
                                        ; implicit-def: $sgpr23
	s_branch .LBB6_1210
.LBB6_1208:                             ;   in Loop: Header=BB6_1159 Depth=1
	v_pk_mov_b32 v[26:27], 0, 0
.LBB6_1209:                             ;   in Loop: Header=BB6_1159 Depth=1
	s_mov_b64 s[18:19], 0
	s_mov_b32 s23, 0
.LBB6_1210:                             ;   in Loop: Header=BB6_1159 Depth=1
	s_andn2_b64 vcc, exec, s[18:19]
	s_cbranch_vccnz .LBB6_1212
; %bb.1211:                             ;   in Loop: Header=BB6_1159 Depth=1
	global_load_dwordx2 v[26:27], v35, s[6:7]
	s_add_i32 s23, s22, -8
	s_add_u32 s6, s6, 8
	s_addc_u32 s7, s7, 0
.LBB6_1212:                             ;   in Loop: Header=BB6_1159 Depth=1
	s_cmp_gt_u32 s23, 7
	s_cbranch_scc1 .LBB6_1216
; %bb.1213:                             ;   in Loop: Header=BB6_1159 Depth=1
	s_cmp_eq_u32 s23, 0
	s_cbranch_scc1 .LBB6_1217
; %bb.1214:                             ;   in Loop: Header=BB6_1159 Depth=1
	s_mov_b64 s[18:19], 0
	v_pk_mov_b32 v[28:29], 0, 0
	s_mov_b64 s[20:21], s[6:7]
.LBB6_1215:                             ;   Parent Loop BB6_1159 Depth=1
                                        ; =>  This Inner Loop Header: Depth=2
	global_load_ubyte v3, v35, s[20:21]
	s_add_i32 s23, s23, -1
	s_waitcnt vmcnt(0)
	v_and_b32_e32 v34, 0xffff, v3
	v_lshlrev_b64 v[10:11], s18, v[34:35]
	s_add_u32 s18, s18, 8
	s_addc_u32 s19, s19, 0
	s_add_u32 s20, s20, 1
	s_addc_u32 s21, s21, 0
	v_or_b32_e32 v28, v10, v28
	s_cmp_lg_u32 s23, 0
	v_or_b32_e32 v29, v11, v29
	s_cbranch_scc1 .LBB6_1215
	s_branch .LBB6_1218
.LBB6_1216:                             ;   in Loop: Header=BB6_1159 Depth=1
	s_mov_b64 s[18:19], -1
	s_branch .LBB6_1219
.LBB6_1217:                             ;   in Loop: Header=BB6_1159 Depth=1
	v_pk_mov_b32 v[28:29], 0, 0
.LBB6_1218:                             ;   in Loop: Header=BB6_1159 Depth=1
	s_mov_b64 s[18:19], 0
.LBB6_1219:                             ;   in Loop: Header=BB6_1159 Depth=1
	s_andn2_b64 vcc, exec, s[18:19]
	s_cbranch_vccnz .LBB6_1221
; %bb.1220:                             ;   in Loop: Header=BB6_1159 Depth=1
	global_load_dwordx2 v[28:29], v35, s[6:7]
.LBB6_1221:                             ;   in Loop: Header=BB6_1159 Depth=1
	v_readfirstlane_b32 s6, v5
	v_cmp_eq_u32_e64 s[6:7], s6, v5
	s_waitcnt vmcnt(0)
	v_pk_mov_b32 v[10:11], 0, 0
	s_and_saveexec_b64 s[18:19], s[6:7]
	s_cbranch_execz .LBB6_1227
; %bb.1222:                             ;   in Loop: Header=BB6_1159 Depth=1
	global_load_dwordx2 v[32:33], v35, s[10:11] offset:24 glc
	s_waitcnt vmcnt(0)
	buffer_invl2
	buffer_wbinvl1_vol
	global_load_dwordx2 v[10:11], v35, s[10:11] offset:40
	global_load_dwordx2 v[14:15], v35, s[10:11]
	s_waitcnt vmcnt(1)
	v_and_b32_e32 v3, v10, v32
	v_and_b32_e32 v10, v11, v33
	v_mul_lo_u32 v10, v10, 24
	v_mul_hi_u32 v11, v3, 24
	v_mul_lo_u32 v3, v3, 24
	v_add_u32_e32 v11, v11, v10
	s_waitcnt vmcnt(0)
	v_add_co_u32_e32 v10, vcc, v14, v3
	v_addc_co_u32_e32 v11, vcc, v15, v11, vcc
	global_load_dwordx2 v[30:31], v[10:11], off glc
	s_waitcnt vmcnt(0)
	global_atomic_cmpswap_x2 v[10:11], v35, v[30:33], s[10:11] offset:24 glc
	s_waitcnt vmcnt(0)
	buffer_invl2
	buffer_wbinvl1_vol
	v_cmp_ne_u64_e32 vcc, v[10:11], v[32:33]
	s_and_saveexec_b64 s[20:21], vcc
	s_cbranch_execz .LBB6_1226
; %bb.1223:                             ;   in Loop: Header=BB6_1159 Depth=1
	s_mov_b64 s[22:23], 0
.LBB6_1224:                             ;   Parent Loop BB6_1159 Depth=1
                                        ; =>  This Inner Loop Header: Depth=2
	s_sleep 1
	global_load_dwordx2 v[14:15], v35, s[10:11] offset:40
	global_load_dwordx2 v[30:31], v35, s[10:11]
	v_pk_mov_b32 v[32:33], v[10:11], v[10:11] op_sel:[0,1]
	s_waitcnt vmcnt(1)
	v_and_b32_e32 v10, v14, v32
	s_waitcnt vmcnt(0)
	v_mad_u64_u32 v[10:11], s[24:25], v10, 24, v[30:31]
	v_and_b32_e32 v3, v15, v33
	v_mov_b32_e32 v14, v11
	v_mad_u64_u32 v[14:15], s[24:25], v3, 24, v[14:15]
	v_mov_b32_e32 v11, v14
	global_load_dwordx2 v[30:31], v[10:11], off glc
	s_waitcnt vmcnt(0)
	global_atomic_cmpswap_x2 v[10:11], v35, v[30:33], s[10:11] offset:24 glc
	s_waitcnt vmcnt(0)
	buffer_invl2
	buffer_wbinvl1_vol
	v_cmp_eq_u64_e32 vcc, v[10:11], v[32:33]
	s_or_b64 s[22:23], vcc, s[22:23]
	s_andn2_b64 exec, exec, s[22:23]
	s_cbranch_execnz .LBB6_1224
; %bb.1225:                             ;   in Loop: Header=BB6_1159 Depth=1
	s_or_b64 exec, exec, s[22:23]
.LBB6_1226:                             ;   in Loop: Header=BB6_1159 Depth=1
	s_or_b64 exec, exec, s[20:21]
.LBB6_1227:                             ;   in Loop: Header=BB6_1159 Depth=1
	s_or_b64 exec, exec, s[18:19]
	global_load_dwordx2 v[14:15], v35, s[10:11] offset:40
	global_load_dwordx4 v[30:33], v35, s[10:11]
	v_readfirstlane_b32 s18, v10
	v_readfirstlane_b32 s19, v11
	s_mov_b64 s[20:21], exec
	s_waitcnt vmcnt(1)
	v_readfirstlane_b32 s22, v14
	v_readfirstlane_b32 s23, v15
	s_and_b64 s[22:23], s[18:19], s[22:23]
	s_mul_i32 s24, s23, 24
	s_mul_hi_u32 s25, s22, 24
	s_mul_i32 vcc_lo, s22, 24
	s_add_i32 s24, s25, s24
	v_mov_b32_e32 v3, s24
	s_waitcnt vmcnt(0)
	v_add_co_u32_e32 v36, vcc, vcc_lo, v30
	v_addc_co_u32_e32 v37, vcc, v31, v3, vcc
	s_and_saveexec_b64 s[24:25], s[6:7]
	s_cbranch_execz .LBB6_1229
; %bb.1228:                             ;   in Loop: Header=BB6_1159 Depth=1
	v_pk_mov_b32 v[10:11], s[20:21], s[20:21] op_sel:[0,1]
	global_store_dwordx4 v[36:37], v[10:13], off offset:8
.LBB6_1229:                             ;   in Loop: Header=BB6_1159 Depth=1
	s_or_b64 exec, exec, s[24:25]
	s_lshl_b64 s[20:21], s[22:23], 12
	v_mov_b32_e32 v3, s21
	v_add_co_u32_e32 v32, vcc, s20, v32
	v_addc_co_u32_e32 v3, vcc, v33, v3, vcc
	v_or_b32_e32 v11, v8, v2
	v_cmp_gt_u64_e64 vcc, s[14:15], 56
	s_lshl_b32 s20, s16, 2
	v_cndmask_b32_e32 v8, v11, v8, vcc
	s_add_i32 s20, s20, 28
	v_or_b32_e32 v10, 0, v9
	s_and_b32 s20, s20, 0x1e0
	v_and_b32_e32 v8, 0xffffff1f, v8
	v_cndmask_b32_e32 v15, v10, v9, vcc
	v_or_b32_e32 v14, s20, v8
	v_readfirstlane_b32 s20, v32
	v_readfirstlane_b32 s21, v3
	s_nop 4
	global_store_dwordx4 v39, v[14:17], s[20:21]
	global_store_dwordx4 v39, v[18:21], s[20:21] offset:16
	global_store_dwordx4 v39, v[22:25], s[20:21] offset:32
	;; [unrolled: 1-line block ×3, first 2 shown]
	s_and_saveexec_b64 s[20:21], s[6:7]
	s_cbranch_execz .LBB6_1237
; %bb.1230:                             ;   in Loop: Header=BB6_1159 Depth=1
	global_load_dwordx2 v[18:19], v35, s[10:11] offset:32 glc
	global_load_dwordx2 v[8:9], v35, s[10:11] offset:40
	v_mov_b32_e32 v16, s18
	v_mov_b32_e32 v17, s19
	s_waitcnt vmcnt(0)
	v_readfirstlane_b32 s22, v8
	v_readfirstlane_b32 s23, v9
	s_and_b64 s[22:23], s[22:23], s[18:19]
	s_mul_i32 s23, s23, 24
	s_mul_hi_u32 s24, s22, 24
	s_mul_i32 s22, s22, 24
	s_add_i32 s23, s24, s23
	v_mov_b32_e32 v8, s23
	v_add_co_u32_e32 v14, vcc, s22, v30
	v_addc_co_u32_e32 v15, vcc, v31, v8, vcc
	global_store_dwordx2 v[14:15], v[18:19], off
	buffer_wbl2
	s_waitcnt vmcnt(0)
	global_atomic_cmpswap_x2 v[10:11], v35, v[16:19], s[10:11] offset:32 glc
	s_waitcnt vmcnt(0)
	v_cmp_ne_u64_e32 vcc, v[10:11], v[18:19]
	s_and_saveexec_b64 s[22:23], vcc
	s_cbranch_execz .LBB6_1233
; %bb.1231:                             ;   in Loop: Header=BB6_1159 Depth=1
	s_mov_b64 s[24:25], 0
.LBB6_1232:                             ;   Parent Loop BB6_1159 Depth=1
                                        ; =>  This Inner Loop Header: Depth=2
	s_sleep 1
	global_store_dwordx2 v[14:15], v[10:11], off
	v_mov_b32_e32 v8, s18
	v_mov_b32_e32 v9, s19
	buffer_wbl2
	s_waitcnt vmcnt(0)
	global_atomic_cmpswap_x2 v[8:9], v35, v[8:11], s[10:11] offset:32 glc
	s_waitcnt vmcnt(0)
	v_cmp_eq_u64_e32 vcc, v[8:9], v[10:11]
	s_or_b64 s[24:25], vcc, s[24:25]
	v_pk_mov_b32 v[10:11], v[8:9], v[8:9] op_sel:[0,1]
	s_andn2_b64 exec, exec, s[24:25]
	s_cbranch_execnz .LBB6_1232
.LBB6_1233:                             ;   in Loop: Header=BB6_1159 Depth=1
	s_or_b64 exec, exec, s[22:23]
	global_load_dwordx2 v[8:9], v35, s[10:11] offset:16
	s_mov_b64 s[24:25], exec
	v_mbcnt_lo_u32_b32 v10, s24, 0
	v_mbcnt_hi_u32_b32 v10, s25, v10
	v_cmp_eq_u32_e32 vcc, 0, v10
	s_and_saveexec_b64 s[22:23], vcc
	s_cbranch_execz .LBB6_1235
; %bb.1234:                             ;   in Loop: Header=BB6_1159 Depth=1
	s_bcnt1_i32_b64 s24, s[24:25]
	v_mov_b32_e32 v34, s24
	buffer_wbl2
	s_waitcnt vmcnt(0)
	global_atomic_add_x2 v[8:9], v[34:35], off offset:8
.LBB6_1235:                             ;   in Loop: Header=BB6_1159 Depth=1
	s_or_b64 exec, exec, s[22:23]
	s_waitcnt vmcnt(0)
	global_load_dwordx2 v[10:11], v[8:9], off offset:16
	s_waitcnt vmcnt(0)
	v_cmp_eq_u64_e32 vcc, 0, v[10:11]
	s_cbranch_vccnz .LBB6_1237
; %bb.1236:                             ;   in Loop: Header=BB6_1159 Depth=1
	global_load_dword v34, v[8:9], off offset:24
	s_waitcnt vmcnt(0)
	v_and_b32_e32 v8, 0xffffff, v34
	v_readfirstlane_b32 m0, v8
	buffer_wbl2
	global_store_dwordx2 v[10:11], v[34:35], off
	s_sendmsg sendmsg(MSG_INTERRUPT)
.LBB6_1237:                             ;   in Loop: Header=BB6_1159 Depth=1
	s_or_b64 exec, exec, s[20:21]
	v_add_co_u32_e32 v8, vcc, v32, v39
	v_addc_co_u32_e32 v9, vcc, 0, v3, vcc
	s_branch .LBB6_1239
.LBB6_1238:                             ;   in Loop: Header=BB6_1159 Depth=1
	s_branch .LBB6_1243
.LBB6_1239:                             ;   Parent Loop BB6_1159 Depth=1
                                        ; =>  This Inner Loop Header: Depth=2
	v_mov_b32_e32 v3, 1
	s_and_saveexec_b64 s[20:21], s[6:7]
	s_cbranch_execz .LBB6_1241
; %bb.1240:                             ;   in Loop: Header=BB6_1239 Depth=2
	global_load_dword v3, v[36:37], off offset:20 glc
	s_waitcnt vmcnt(0)
	buffer_invl2
	buffer_wbinvl1_vol
	v_and_b32_e32 v3, 1, v3
.LBB6_1241:                             ;   in Loop: Header=BB6_1239 Depth=2
	s_or_b64 exec, exec, s[20:21]
	v_readfirstlane_b32 s20, v3
	s_cmp_eq_u32 s20, 0
	s_cbranch_scc1 .LBB6_1238
; %bb.1242:                             ;   in Loop: Header=BB6_1239 Depth=2
	s_sleep 1
	s_cbranch_execnz .LBB6_1239
.LBB6_1243:                             ;   in Loop: Header=BB6_1159 Depth=1
	global_load_dwordx4 v[8:11], v[8:9], off
	s_and_saveexec_b64 s[20:21], s[6:7]
	s_cbranch_execz .LBB6_1158
; %bb.1244:                             ;   in Loop: Header=BB6_1159 Depth=1
	global_load_dwordx2 v[10:11], v35, s[10:11] offset:40
	global_load_dwordx2 v[18:19], v35, s[10:11] offset:24 glc
	global_load_dwordx2 v[20:21], v35, s[10:11]
	v_mov_b32_e32 v3, s19
	s_waitcnt vmcnt(2)
	v_add_co_u32_e32 v17, vcc, 1, v10
	v_addc_co_u32_e32 v22, vcc, 0, v11, vcc
	v_add_co_u32_e32 v14, vcc, s18, v17
	v_addc_co_u32_e32 v15, vcc, v22, v3, vcc
	v_cmp_eq_u64_e32 vcc, 0, v[14:15]
	v_cndmask_b32_e32 v15, v15, v22, vcc
	v_cndmask_b32_e32 v14, v14, v17, vcc
	v_and_b32_e32 v3, v15, v11
	v_and_b32_e32 v10, v14, v10
	v_mul_lo_u32 v3, v3, 24
	v_mul_hi_u32 v11, v10, 24
	v_mul_lo_u32 v10, v10, 24
	v_add_u32_e32 v3, v11, v3
	s_waitcnt vmcnt(0)
	v_add_co_u32_e32 v10, vcc, v20, v10
	v_addc_co_u32_e32 v11, vcc, v21, v3, vcc
	v_mov_b32_e32 v16, v18
	global_store_dwordx2 v[10:11], v[18:19], off
	v_mov_b32_e32 v17, v19
	buffer_wbl2
	s_waitcnt vmcnt(0)
	global_atomic_cmpswap_x2 v[16:17], v35, v[14:17], s[10:11] offset:24 glc
	s_waitcnt vmcnt(0)
	v_cmp_ne_u64_e32 vcc, v[16:17], v[18:19]
	s_and_b64 exec, exec, vcc
	s_cbranch_execz .LBB6_1158
; %bb.1245:                             ;   in Loop: Header=BB6_1159 Depth=1
	s_mov_b64 s[6:7], 0
.LBB6_1246:                             ;   Parent Loop BB6_1159 Depth=1
                                        ; =>  This Inner Loop Header: Depth=2
	s_sleep 1
	global_store_dwordx2 v[10:11], v[16:17], off
	buffer_wbl2
	s_waitcnt vmcnt(0)
	global_atomic_cmpswap_x2 v[18:19], v35, v[14:17], s[10:11] offset:24 glc
	s_waitcnt vmcnt(0)
	v_cmp_eq_u64_e32 vcc, v[18:19], v[16:17]
	s_or_b64 s[6:7], vcc, s[6:7]
	v_pk_mov_b32 v[16:17], v[18:19], v[18:19] op_sel:[0,1]
	s_andn2_b64 exec, exec, s[6:7]
	s_cbranch_execnz .LBB6_1246
	s_branch .LBB6_1158
.LBB6_1247:
	s_mov_b64 s[4:5], 0
	s_branch .LBB6_1249
.LBB6_1248:
	s_mov_b64 s[4:5], -1
.LBB6_1249:
	s_and_b64 vcc, exec, s[4:5]
	s_cbranch_vccz .LBB6_1276
; %bb.1250:
	v_readfirstlane_b32 s4, v30
	s_mov_b64 s[8:9], s[42:43]
	s_mov_b64 s[10:11], s[40:41]
	v_cmp_eq_u32_e64 s[4:5], s4, v30
	s_waitcnt vmcnt(0)
	v_pk_mov_b32 v[8:9], 0, 0
	s_and_saveexec_b64 s[12:13], s[4:5]
	s_cbranch_execz .LBB6_1256
; %bb.1251:
	v_mov_b32_e32 v2, 0
	global_load_dwordx2 v[6:7], v2, s[6:7] offset:24 glc
	s_waitcnt vmcnt(0)
	buffer_invl2
	buffer_wbinvl1_vol
	global_load_dwordx2 v[4:5], v2, s[6:7] offset:40
	global_load_dwordx2 v[8:9], v2, s[6:7]
	s_waitcnt vmcnt(1)
	v_and_b32_e32 v3, v4, v6
	v_and_b32_e32 v4, v5, v7
	v_mul_lo_u32 v4, v4, 24
	v_mul_hi_u32 v5, v3, 24
	v_mul_lo_u32 v3, v3, 24
	v_add_u32_e32 v5, v5, v4
	s_waitcnt vmcnt(0)
	v_add_co_u32_e32 v4, vcc, v8, v3
	v_addc_co_u32_e32 v5, vcc, v9, v5, vcc
	global_load_dwordx2 v[4:5], v[4:5], off glc
	s_waitcnt vmcnt(0)
	global_atomic_cmpswap_x2 v[8:9], v2, v[4:7], s[6:7] offset:24 glc
	s_waitcnt vmcnt(0)
	buffer_invl2
	buffer_wbinvl1_vol
	v_cmp_ne_u64_e32 vcc, v[8:9], v[6:7]
	s_and_saveexec_b64 s[14:15], vcc
	s_cbranch_execz .LBB6_1255
; %bb.1252:
	s_mov_b64 s[16:17], 0
.LBB6_1253:                             ; =>This Inner Loop Header: Depth=1
	s_sleep 1
	global_load_dwordx2 v[4:5], v2, s[6:7] offset:40
	global_load_dwordx2 v[10:11], v2, s[6:7]
	v_pk_mov_b32 v[6:7], v[8:9], v[8:9] op_sel:[0,1]
	s_waitcnt vmcnt(1)
	v_and_b32_e32 v4, v4, v6
	v_and_b32_e32 v3, v5, v7
	s_waitcnt vmcnt(0)
	v_mad_u64_u32 v[4:5], s[18:19], v4, 24, v[10:11]
	v_mov_b32_e32 v8, v5
	v_mad_u64_u32 v[8:9], s[18:19], v3, 24, v[8:9]
	v_mov_b32_e32 v5, v8
	global_load_dwordx2 v[4:5], v[4:5], off glc
	s_waitcnt vmcnt(0)
	global_atomic_cmpswap_x2 v[8:9], v2, v[4:7], s[6:7] offset:24 glc
	s_waitcnt vmcnt(0)
	buffer_invl2
	buffer_wbinvl1_vol
	v_cmp_eq_u64_e32 vcc, v[8:9], v[6:7]
	s_or_b64 s[16:17], vcc, s[16:17]
	s_andn2_b64 exec, exec, s[16:17]
	s_cbranch_execnz .LBB6_1253
; %bb.1254:
	s_or_b64 exec, exec, s[16:17]
.LBB6_1255:
	s_or_b64 exec, exec, s[14:15]
.LBB6_1256:
	s_or_b64 exec, exec, s[12:13]
	v_mov_b32_e32 v2, 0
	global_load_dwordx2 v[10:11], v2, s[6:7] offset:40
	global_load_dwordx4 v[4:7], v2, s[6:7]
	v_readfirstlane_b32 s12, v8
	v_readfirstlane_b32 s13, v9
	s_mov_b64 s[14:15], exec
	s_waitcnt vmcnt(1)
	v_readfirstlane_b32 s16, v10
	v_readfirstlane_b32 s17, v11
	s_and_b64 s[16:17], s[12:13], s[16:17]
	s_mul_i32 s18, s17, 24
	s_mul_hi_u32 s19, s16, 24
	s_mul_i32 s20, s16, 24
	s_add_i32 s18, s19, s18
	v_mov_b32_e32 v3, s18
	s_waitcnt vmcnt(0)
	v_add_co_u32_e32 v8, vcc, s20, v4
	v_addc_co_u32_e32 v9, vcc, v5, v3, vcc
	s_and_saveexec_b64 s[18:19], s[4:5]
	s_cbranch_execz .LBB6_1258
; %bb.1257:
	v_pk_mov_b32 v[10:11], s[14:15], s[14:15] op_sel:[0,1]
	v_mov_b32_e32 v12, 2
	v_mov_b32_e32 v13, 1
	global_store_dwordx4 v[8:9], v[10:13], off offset:8
.LBB6_1258:
	s_or_b64 exec, exec, s[18:19]
	s_lshl_b64 s[14:15], s[16:17], 12
	v_mov_b32_e32 v3, s15
	v_add_co_u32_e32 v6, vcc, s14, v6
	v_addc_co_u32_e32 v7, vcc, v7, v3, vcc
	s_movk_i32 s14, 0xff1d
	s_mov_b32 s16, 0
	v_and_or_b32 v0, v0, s14, 34
	v_mov_b32_e32 v3, v2
	v_readfirstlane_b32 s14, v6
	v_readfirstlane_b32 s15, v7
	s_mov_b32 s17, s16
	s_mov_b32 s18, s16
	;; [unrolled: 1-line block ×3, first 2 shown]
	s_nop 1
	global_store_dwordx4 v31, v[0:3], s[14:15]
	s_nop 0
	v_pk_mov_b32 v[0:1], s[16:17], s[16:17] op_sel:[0,1]
	v_pk_mov_b32 v[2:3], s[18:19], s[18:19] op_sel:[0,1]
	global_store_dwordx4 v31, v[0:3], s[14:15] offset:16
	global_store_dwordx4 v31, v[0:3], s[14:15] offset:32
	;; [unrolled: 1-line block ×3, first 2 shown]
	s_and_saveexec_b64 s[14:15], s[4:5]
	s_cbranch_execz .LBB6_1266
; %bb.1259:
	v_mov_b32_e32 v6, 0
	global_load_dwordx2 v[12:13], v6, s[6:7] offset:32 glc
	global_load_dwordx2 v[0:1], v6, s[6:7] offset:40
	v_mov_b32_e32 v10, s12
	v_mov_b32_e32 v11, s13
	s_waitcnt vmcnt(0)
	v_readfirstlane_b32 s16, v0
	v_readfirstlane_b32 s17, v1
	s_and_b64 s[16:17], s[16:17], s[12:13]
	s_mul_i32 s17, s17, 24
	s_mul_hi_u32 s18, s16, 24
	s_mul_i32 s16, s16, 24
	s_add_i32 s17, s18, s17
	v_mov_b32_e32 v0, s17
	v_add_co_u32_e32 v4, vcc, s16, v4
	v_addc_co_u32_e32 v5, vcc, v5, v0, vcc
	global_store_dwordx2 v[4:5], v[12:13], off
	buffer_wbl2
	s_waitcnt vmcnt(0)
	global_atomic_cmpswap_x2 v[2:3], v6, v[10:13], s[6:7] offset:32 glc
	s_waitcnt vmcnt(0)
	v_cmp_ne_u64_e32 vcc, v[2:3], v[12:13]
	s_and_saveexec_b64 s[16:17], vcc
	s_cbranch_execz .LBB6_1262
; %bb.1260:
	s_mov_b64 s[18:19], 0
.LBB6_1261:                             ; =>This Inner Loop Header: Depth=1
	s_sleep 1
	global_store_dwordx2 v[4:5], v[2:3], off
	v_mov_b32_e32 v0, s12
	v_mov_b32_e32 v1, s13
	buffer_wbl2
	s_waitcnt vmcnt(0)
	global_atomic_cmpswap_x2 v[0:1], v6, v[0:3], s[6:7] offset:32 glc
	s_waitcnt vmcnt(0)
	v_cmp_eq_u64_e32 vcc, v[0:1], v[2:3]
	s_or_b64 s[18:19], vcc, s[18:19]
	v_pk_mov_b32 v[2:3], v[0:1], v[0:1] op_sel:[0,1]
	s_andn2_b64 exec, exec, s[18:19]
	s_cbranch_execnz .LBB6_1261
.LBB6_1262:
	s_or_b64 exec, exec, s[16:17]
	v_mov_b32_e32 v3, 0
	global_load_dwordx2 v[0:1], v3, s[6:7] offset:16
	s_mov_b64 s[16:17], exec
	v_mbcnt_lo_u32_b32 v2, s16, 0
	v_mbcnt_hi_u32_b32 v2, s17, v2
	v_cmp_eq_u32_e32 vcc, 0, v2
	s_and_saveexec_b64 s[18:19], vcc
	s_cbranch_execz .LBB6_1264
; %bb.1263:
	s_bcnt1_i32_b64 s16, s[16:17]
	v_mov_b32_e32 v2, s16
	buffer_wbl2
	s_waitcnt vmcnt(0)
	global_atomic_add_x2 v[0:1], v[2:3], off offset:8
.LBB6_1264:
	s_or_b64 exec, exec, s[18:19]
	s_waitcnt vmcnt(0)
	global_load_dwordx2 v[2:3], v[0:1], off offset:16
	s_waitcnt vmcnt(0)
	v_cmp_eq_u64_e32 vcc, 0, v[2:3]
	s_cbranch_vccnz .LBB6_1266
; %bb.1265:
	global_load_dword v0, v[0:1], off offset:24
	v_mov_b32_e32 v1, 0
	buffer_wbl2
	s_waitcnt vmcnt(0)
	global_store_dwordx2 v[2:3], v[0:1], off
	v_and_b32_e32 v0, 0xffffff, v0
	v_readfirstlane_b32 m0, v0
	s_sendmsg sendmsg(MSG_INTERRUPT)
.LBB6_1266:
	s_or_b64 exec, exec, s[14:15]
	s_branch .LBB6_1268
.LBB6_1267:
	s_branch .LBB6_1272
.LBB6_1268:                             ; =>This Inner Loop Header: Depth=1
	v_mov_b32_e32 v0, 1
	s_and_saveexec_b64 s[14:15], s[4:5]
	s_cbranch_execz .LBB6_1270
; %bb.1269:                             ;   in Loop: Header=BB6_1268 Depth=1
	global_load_dword v0, v[8:9], off offset:20 glc
	s_waitcnt vmcnt(0)
	buffer_invl2
	buffer_wbinvl1_vol
	v_and_b32_e32 v0, 1, v0
.LBB6_1270:                             ;   in Loop: Header=BB6_1268 Depth=1
	s_or_b64 exec, exec, s[14:15]
	v_readfirstlane_b32 s14, v0
	s_cmp_eq_u32 s14, 0
	s_cbranch_scc1 .LBB6_1267
; %bb.1271:                             ;   in Loop: Header=BB6_1268 Depth=1
	s_sleep 1
	s_cbranch_execnz .LBB6_1268
.LBB6_1272:
	s_and_saveexec_b64 s[14:15], s[4:5]
	s_cbranch_execz .LBB6_1275
; %bb.1273:
	v_mov_b32_e32 v6, 0
	global_load_dwordx2 v[4:5], v6, s[6:7] offset:40
	global_load_dwordx2 v[8:9], v6, s[6:7] offset:24 glc
	global_load_dwordx2 v[10:11], v6, s[6:7]
	v_mov_b32_e32 v1, s13
	s_mov_b64 s[4:5], 0
	s_waitcnt vmcnt(2)
	v_add_co_u32_e32 v3, vcc, 1, v4
	v_addc_co_u32_e32 v7, vcc, 0, v5, vcc
	v_add_co_u32_e32 v0, vcc, s12, v3
	v_addc_co_u32_e32 v1, vcc, v7, v1, vcc
	v_cmp_eq_u64_e32 vcc, 0, v[0:1]
	v_cndmask_b32_e32 v1, v1, v7, vcc
	v_cndmask_b32_e32 v0, v0, v3, vcc
	v_and_b32_e32 v3, v1, v5
	v_and_b32_e32 v4, v0, v4
	v_mul_lo_u32 v3, v3, 24
	v_mul_hi_u32 v5, v4, 24
	v_mul_lo_u32 v4, v4, 24
	v_add_u32_e32 v3, v5, v3
	s_waitcnt vmcnt(0)
	v_add_co_u32_e32 v4, vcc, v10, v4
	v_addc_co_u32_e32 v5, vcc, v11, v3, vcc
	v_mov_b32_e32 v2, v8
	global_store_dwordx2 v[4:5], v[8:9], off
	v_mov_b32_e32 v3, v9
	buffer_wbl2
	s_waitcnt vmcnt(0)
	global_atomic_cmpswap_x2 v[2:3], v6, v[0:3], s[6:7] offset:24 glc
	s_waitcnt vmcnt(0)
	v_cmp_ne_u64_e32 vcc, v[2:3], v[8:9]
	s_and_b64 exec, exec, vcc
	s_cbranch_execz .LBB6_1275
.LBB6_1274:                             ; =>This Inner Loop Header: Depth=1
	s_sleep 1
	global_store_dwordx2 v[4:5], v[2:3], off
	buffer_wbl2
	s_waitcnt vmcnt(0)
	global_atomic_cmpswap_x2 v[8:9], v6, v[0:3], s[6:7] offset:24 glc
	s_waitcnt vmcnt(0)
	v_cmp_eq_u64_e32 vcc, v[8:9], v[2:3]
	s_or_b64 s[4:5], vcc, s[4:5]
	v_pk_mov_b32 v[2:3], v[8:9], v[8:9] op_sel:[0,1]
	s_andn2_b64 exec, exec, s[4:5]
	s_cbranch_execnz .LBB6_1274
.LBB6_1275:
	s_or_b64 exec, exec, s[14:15]
	s_mov_b64 s[38:39], 0
	s_mov_b64 s[40:41], s[10:11]
	;; [unrolled: 1-line block ×3, first 2 shown]
.LBB6_1276:
	s_getpc_b64 s[4:5]
	s_add_u32 s4, s4, .str.29@rel32@lo+4
	s_addc_u32 s5, s5, .str.29@rel32@hi+12
	s_getpc_b64 s[6:7]
	s_add_u32 s6, s6, .str.19@rel32@lo+4
	s_addc_u32 s7, s7, .str.19@rel32@hi+12
	s_getpc_b64 s[10:11]
	s_add_u32 s10, s10, __PRETTY_FUNCTION__._ZN7VecsMemIjLi8192EE5fetchEi@rel32@lo+4
	s_addc_u32 s11, s11, __PRETTY_FUNCTION__._ZN7VecsMemIjLi8192EE5fetchEi@rel32@hi+12
	s_mov_b64 s[8:9], s[48:49]
	s_waitcnt vmcnt(0)
	v_mov_b32_e32 v0, s4
	v_mov_b32_e32 v1, s5
	v_mov_b32_e32 v2, s6
	v_mov_b32_e32 v3, s7
	v_mov_b32_e32 v4, 12
	v_mov_b32_e32 v5, s10
	v_mov_b32_e32 v6, s11
	s_getpc_b64 s[12:13]
	s_add_u32 s12, s12, __assert_fail@rel32@lo+4
	s_addc_u32 s13, s13, __assert_fail@rel32@hi+12
	s_swappc_b64 s[30:31], s[12:13]
	v_accvgpr_read_b32 v21, a1
	v_accvgpr_read_b32 v23, a3
	;; [unrolled: 1-line block ×3, first 2 shown]
	s_or_b64 s[4:5], s[26:27], exec
	v_accvgpr_read_b32 v20, a0
	v_accvgpr_read_b32 v22, a2
	v_accvgpr_read_b32 v24, a4
.LBB6_1277:
	s_or_b64 exec, exec, s[70:71]
	s_andn2_b64 s[6:7], s[26:27], exec
	s_and_b64 s[4:5], s[4:5], exec
	s_or_b64 s[70:71], s[6:7], s[4:5]
	s_orn2_b64 s[4:5], s[68:69], exec
.LBB6_1278:
	s_or_b64 exec, exec, s[44:45]
	s_mov_b64 s[10:11], 0
                                        ; implicit-def: $vgpr40
	s_and_saveexec_b64 s[8:9], s[4:5]
	s_cbranch_execz .LBB6_3039
; %bb.1279:
	s_mov_b32 s14, 0
	v_cmp_lt_i32_e32 vcc, 0, v44
	v_mov_b32_e32 v0, 0
	buffer_store_dword v47, off, s[0:3], s33 offset:188
	buffer_store_dword v46, off, s[0:3], s33 offset:184
	s_and_saveexec_b64 s[4:5], vcc
	s_cbranch_execz .LBB6_1287
; %bb.1280:
	v_mov_b32_e32 v0, 0
	v_pk_mov_b32 v[2:3], v[58:59], v[58:59] op_sel:[0,1]
	s_branch .LBB6_1282
.LBB6_1281:                             ;   in Loop: Header=BB6_1282 Depth=1
	s_or_b64 exec, exec, s[12:13]
	flat_load_dword v1, v[24:25] offset:4
	s_add_i32 s14, s14, 1
	s_waitcnt vmcnt(0) lgkmcnt(0)
	v_cmp_ge_i32_e32 vcc, s14, v1
	s_or_b64 s[10:11], vcc, s[10:11]
	v_add_co_u32_e32 v2, vcc, 4, v2
	v_addc_co_u32_e32 v3, vcc, 0, v3, vcc
	s_andn2_b64 exec, exec, s[10:11]
	s_cbranch_execz .LBB6_1286
.LBB6_1282:                             ; =>This Inner Loop Header: Depth=1
	flat_load_dword v4, v[2:3]
	s_waitcnt vmcnt(0) lgkmcnt(0)
	v_cmp_gt_i32_e32 vcc, 0, v4
	s_and_saveexec_b64 s[12:13], vcc
	s_xor_b64 s[12:13], exec, s[12:13]
	s_cbranch_execz .LBB6_1284
; %bb.1283:                             ;   in Loop: Header=BB6_1282 Depth=1
	v_and_b32_e32 v1, 0x7fffffff, v4
	flat_store_dword v[2:3], v1
                                        ; implicit-def: $vgpr4
.LBB6_1284:                             ;   in Loop: Header=BB6_1282 Depth=1
	s_andn2_saveexec_b64 s[12:13], s[12:13]
	s_cbranch_execz .LBB6_1281
; %bb.1285:                             ;   in Loop: Header=BB6_1282 Depth=1
	v_ashrrev_i32_e32 v1, 31, v0
	v_add_u32_e32 v5, 1, v0
	v_lshlrev_b64 v[0:1], 2, v[0:1]
	v_add_co_u32_e32 v0, vcc, v46, v0
	v_addc_co_u32_e32 v1, vcc, v47, v1, vcc
	flat_store_dword v[0:1], v4
	v_mov_b32_e32 v0, v5
	s_branch .LBB6_1281
.LBB6_1286:
	s_or_b64 exec, exec, s[10:11]
	buffer_store_dword v0, off, s[0:3], s33 offset:180
.LBB6_1287:
	s_or_b64 exec, exec, s[4:5]
	v_cmp_ne_u32_e32 vcc, v42, v0
	s_mov_b64 s[10:11], s[70:71]
	s_and_saveexec_b64 s[4:5], vcc
	v_writelane_b32 v62, s8, 18
	s_xor_b64 s[44:45], exec, s[4:5]
	v_writelane_b32 v62, s9, 19
	s_cbranch_execz .LBB6_1289
; %bb.1288:
	s_getpc_b64 s[4:5]
	s_add_u32 s4, s4, .str.40@rel32@lo+4
	s_addc_u32 s5, s5, .str.40@rel32@hi+12
	s_getpc_b64 s[10:11]
	s_add_u32 s10, s10, .str.31@rel32@lo+4
	s_addc_u32 s11, s11, .str.31@rel32@hi+12
	s_getpc_b64 s[12:13]
	s_add_u32 s12, s12, __PRETTY_FUNCTION__._ZN3sop17sopDivideInternalEPNS_3SopES1_S1_S1_P7VecsMemIjLi8192EE@rel32@lo+4
	s_addc_u32 s13, s13, __PRETTY_FUNCTION__._ZN3sop17sopDivideInternalEPNS_3SopES1_S1_S1_P7VecsMemIjLi8192EE@rel32@hi+12
	s_mov_b64 s[8:9], s[48:49]
	v_mov_b32_e32 v0, s4
	v_mov_b32_e32 v1, s5
	;; [unrolled: 1-line block ×7, first 2 shown]
	s_getpc_b64 s[14:15]
	s_add_u32 s14, s14, __assert_fail@rel32@lo+4
	s_addc_u32 s15, s15, __assert_fail@rel32@hi+12
	s_swappc_b64 s[30:31], s[14:15]
	v_readlane_b32 s8, v62, 18
	v_readlane_b32 s9, v62, 19
	s_or_b64 s[10:11], s[70:71], exec
                                        ; implicit-def: $vgpr54_vgpr55
                                        ; implicit-def: $vgpr44
                                        ; implicit-def: $vgpr57
                                        ; implicit-def: $vgpr60
                                        ; implicit-def: $vgpr45
                                        ; implicit-def: $vgpr56
                                        ; implicit-def: $vgpr58_vgpr59
                                        ; implicit-def: $vgpr22_vgpr23
                                        ; implicit-def: $vgpr20_vgpr21
                                        ; implicit-def: $vgpr41
                                        ; implicit-def: $vgpr24_vgpr25
.LBB6_1289:
	s_or_saveexec_b64 s[14:15], s[44:45]
	s_mov_b64 s[4:5], 0
                                        ; implicit-def: $vgpr40
	s_xor_b64 exec, exec, s[14:15]
	s_cbranch_execz .LBB6_3038
; %bb.1290:
	v_cmp_gt_i32_e32 vcc, 1, v57
	v_cmp_lt_i32_e64 s[4:5], 0, v57
	v_mov_b32_e32 v2, -1
	s_and_saveexec_b64 s[12:13], s[4:5]
	v_writelane_b32 v62, s10, 20
	v_writelane_b32 v62, s11, 21
	v_writelane_b32 v62, s14, 22
	v_writelane_b32 v62, s15, 23
	s_cbranch_execz .LBB6_1300
; %bb.1291:
	s_mov_b64 s[6:7], s[42:43]
	s_mov_b64 s[8:9], s[40:41]
	v_cmp_ne_u32_e64 s[4:5], 1, v57
	s_mov_b64 s[16:17], -1
	v_mov_b32_e32 v2, -1
	v_mov_b32_e32 v0, 0
	s_and_saveexec_b64 s[14:15], s[4:5]
	s_cbranch_execz .LBB6_1295
; %bb.1292:
	v_and_b32_e32 v0, 0x7ffffffe, v57
	s_mov_b64 s[16:17], 0
	v_mov_b32_e32 v1, -1
	v_mov_b32_e32 v4, v0
	v_pk_mov_b32 v[2:3], v[54:55], v[54:55] op_sel:[0,1]
	v_mov_b32_e32 v5, -1
.LBB6_1293:                             ; =>This Inner Loop Header: Depth=1
	flat_load_dwordx2 v[6:7], v[2:3]
	v_add_co_u32_e64 v2, s[4:5], 8, v2
	v_addc_co_u32_e64 v3, s[4:5], 0, v3, s[4:5]
	v_add_u32_e32 v4, -2, v4
	v_cmp_eq_u32_e64 s[4:5], 0, v4
	s_or_b64 s[16:17], s[4:5], s[16:17]
	s_waitcnt vmcnt(0) lgkmcnt(0)
	v_and_b32_e32 v5, v7, v5
	v_and_b32_e32 v1, v6, v1
	s_andn2_b64 exec, exec, s[16:17]
	s_cbranch_execnz .LBB6_1293
; %bb.1294:
	s_or_b64 exec, exec, s[16:17]
	v_cmp_ne_u32_e64 s[4:5], v57, v0
	v_and_b32_e32 v2, v1, v5
	s_orn2_b64 s[16:17], s[4:5], exec
.LBB6_1295:
	s_or_b64 exec, exec, s[14:15]
	s_and_saveexec_b64 s[14:15], s[16:17]
	s_cbranch_execz .LBB6_1299
; %bb.1296:
	v_mov_b32_e32 v1, 0
	v_sub_u32_e32 v3, v57, v0
	v_lshlrev_b64 v[0:1], 2, v[0:1]
	v_add_co_u32_e64 v0, s[4:5], v54, v0
	v_addc_co_u32_e64 v1, s[4:5], v55, v1, s[4:5]
	s_mov_b64 s[16:17], 0
.LBB6_1297:                             ; =>This Inner Loop Header: Depth=1
	flat_load_dword v4, v[0:1]
	v_add_co_u32_e64 v0, s[4:5], 4, v0
	v_add_u32_e32 v3, -1, v3
	v_addc_co_u32_e64 v1, s[4:5], 0, v1, s[4:5]
	v_cmp_eq_u32_e64 s[4:5], 0, v3
	s_or_b64 s[16:17], s[4:5], s[16:17]
	s_waitcnt vmcnt(0) lgkmcnt(0)
	v_and_b32_e32 v2, v4, v2
	s_andn2_b64 exec, exec, s[16:17]
	s_cbranch_execnz .LBB6_1297
; %bb.1298:
	s_or_b64 exec, exec, s[16:17]
.LBB6_1299:
	s_or_b64 exec, exec, s[14:15]
	s_mov_b64 s[40:41], s[8:9]
	v_readlane_b32 s8, v62, 18
	v_readlane_b32 s10, v62, 20
	;; [unrolled: 1-line block ×3, first 2 shown]
	s_mov_b64 s[38:39], 0
	s_mov_b64 s[42:43], s[6:7]
	v_readlane_b32 s9, v62, 19
	v_readlane_b32 s11, v62, 21
	v_readlane_b32 s15, v62, 23
.LBB6_1300:
	s_or_b64 exec, exec, s[12:13]
	v_cmp_ne_u32_e64 s[4:5], 0, v2
	s_mov_b64 s[44:45], 0
	s_mov_b64 s[80:81], s[10:11]
                                        ; implicit-def: $vgpr40
	s_and_saveexec_b64 s[12:13], s[4:5]
	s_xor_b64 s[4:5], exec, s[12:13]
	s_cbranch_execz .LBB6_2821
; %bb.1301:
	v_writelane_b32 v62, s4, 24
	v_writelane_b32 v62, s5, 25
	;; [unrolled: 1-line block ×21, first 2 shown]
	v_accvgpr_write_b32 a0, v24
	v_accvgpr_write_b32 a33, v23
	v_writelane_b32 v62, s35, 9
	v_accvgpr_write_b32 a1, v25
	v_accvgpr_write_b32 a32, v22
	v_pk_mov_b32 v[60:61], v[20:21], v[20:21] op_sel:[0,1]
	s_mov_b64 s[28:29], s[10:11]
	s_and_saveexec_b64 s[4:5], vcc
	s_xor_b64 s[26:27], exec, s[4:5]
	s_cbranch_execz .LBB6_1303
; %bb.1302:
	s_getpc_b64 s[4:5]
	s_add_u32 s4, s4, .str.33@rel32@lo+4
	s_addc_u32 s5, s5, .str.33@rel32@hi+12
	s_getpc_b64 s[6:7]
	s_add_u32 s6, s6, .str.31@rel32@lo+4
	s_addc_u32 s7, s7, .str.31@rel32@hi+12
	s_getpc_b64 s[10:11]
	s_add_u32 s10, s10, __PRETTY_FUNCTION__._ZN3sop18sopCommonCubeCoverEPNS_3SopES1_P7VecsMemIjLi8192EE@rel32@lo+4
	s_addc_u32 s11, s11, __PRETTY_FUNCTION__._ZN3sop18sopCommonCubeCoverEPNS_3SopES1_P7VecsMemIjLi8192EE@rel32@hi+12
	s_mov_b64 s[8:9], s[48:49]
	v_mov_b32_e32 v0, s4
	v_mov_b32_e32 v1, s5
	;; [unrolled: 1-line block ×7, first 2 shown]
	s_getpc_b64 s[12:13]
	s_add_u32 s12, s12, __assert_fail@rel32@lo+4
	s_addc_u32 s13, s13, __assert_fail@rel32@hi+12
	s_swappc_b64 s[30:31], s[12:13]
	v_readlane_b32 s4, v62, 20
	v_readlane_b32 s5, v62, 21
	s_or_b64 s[28:29], s[4:5], exec
                                        ; implicit-def: $vgpr54_vgpr55
                                        ; implicit-def: $vgpr57
                                        ; implicit-def: $vgpr45
                                        ; implicit-def: $vgpr56
                                        ; implicit-def: $vgpr58_vgpr59
                                        ; implicit-def: $agpr32_agpr33
                                        ; implicit-def: $vgpr60_vgpr61
                                        ; implicit-def: $vgpr41
                                        ; implicit-def: $agpr0_agpr1
.LBB6_1303:
	s_or_saveexec_b64 s[4:5], s[26:27]
	s_mov_b64 s[6:7], 0
                                        ; implicit-def: $vgpr40
	s_xor_b64 exec, exec, s[4:5]
	s_cbranch_execz .LBB6_2820
; %bb.1304:
	v_accvgpr_read_b32 v0, a32
	v_accvgpr_read_b32 v1, a33
	flat_load_dword v0, v[0:1]
	v_writelane_b32 v62, s4, 40
	v_writelane_b32 v62, s5, 41
	s_movk_i32 s4, 0x2000
	v_writelane_b32 v62, s28, 42
	s_mov_b64 s[26:27], 0
	v_writelane_b32 v62, s29, 43
                                        ; implicit-def: $vgpr40
	s_waitcnt vmcnt(0) lgkmcnt(0)
	v_cmp_gt_i32_e32 vcc, s4, v0
	s_and_saveexec_b64 s[4:5], vcc
	s_xor_b64 s[68:69], exec, s[4:5]
	s_cbranch_execz .LBB6_2672
; %bb.1305:
	v_accvgpr_read_b32 v2, a32
	v_add_u32_e32 v1, 1, v0
	v_accvgpr_read_b32 v3, a33
	flat_store_dword v[2:3], v1
	v_cmp_ne_u32_e32 vcc, 1, v57
	s_mov_b64 s[6:7], -1
	v_mov_b32_e32 v4, -1
	v_mov_b32_e32 v2, 0
	s_and_saveexec_b64 s[4:5], vcc
	s_cbranch_execz .LBB6_1309
; %bb.1306:
	v_and_b32_e32 v2, 0x7ffffffe, v57
	s_mov_b64 s[6:7], 0
	v_mov_b32_e32 v1, -1
	v_mov_b32_e32 v3, v2
	v_pk_mov_b32 v[4:5], v[54:55], v[54:55] op_sel:[0,1]
	v_mov_b32_e32 v6, -1
.LBB6_1307:                             ; =>This Inner Loop Header: Depth=1
	flat_load_dwordx2 v[8:9], v[4:5]
	v_add_co_u32_e32 v4, vcc, 8, v4
	v_addc_co_u32_e32 v5, vcc, 0, v5, vcc
	v_add_u32_e32 v3, -2, v3
	v_cmp_eq_u32_e32 vcc, 0, v3
	s_or_b64 s[6:7], vcc, s[6:7]
	s_waitcnt vmcnt(0) lgkmcnt(0)
	v_and_b32_e32 v6, v9, v6
	v_and_b32_e32 v1, v8, v1
	s_andn2_b64 exec, exec, s[6:7]
	s_cbranch_execnz .LBB6_1307
; %bb.1308:
	s_or_b64 exec, exec, s[6:7]
	v_cmp_ne_u32_e32 vcc, v57, v2
	v_and_b32_e32 v4, v1, v6
	s_orn2_b64 s[6:7], vcc, exec
.LBB6_1309:
	s_or_b64 exec, exec, s[4:5]
	s_and_saveexec_b64 s[4:5], s[6:7]
	s_cbranch_execz .LBB6_1313
; %bb.1310:
	v_mov_b32_e32 v3, 0
	v_sub_u32_e32 v1, v57, v2
	v_lshlrev_b64 v[2:3], 2, v[2:3]
	v_add_co_u32_e32 v2, vcc, v54, v2
	v_addc_co_u32_e32 v3, vcc, v55, v3, vcc
	s_mov_b64 s[6:7], 0
.LBB6_1311:                             ; =>This Inner Loop Header: Depth=1
	flat_load_dword v5, v[2:3]
	v_add_co_u32_e32 v2, vcc, 4, v2
	v_add_u32_e32 v1, -1, v1
	v_addc_co_u32_e32 v3, vcc, 0, v3, vcc
	v_cmp_eq_u32_e32 vcc, 0, v1
	s_or_b64 s[6:7], vcc, s[6:7]
	s_waitcnt vmcnt(0) lgkmcnt(0)
	v_and_b32_e32 v4, v5, v4
	s_andn2_b64 exec, exec, s[6:7]
	s_cbranch_execnz .LBB6_1311
; %bb.1312:
	s_or_b64 exec, exec, s[6:7]
.LBB6_1313:
	s_or_b64 exec, exec, s[4:5]
	v_ashrrev_i32_e32 v1, 31, v0
	v_lshlrev_b64 v[0:1], 2, v[0:1]
	v_add_co_u32_e32 v0, vcc, v45, v0
	v_addc_co_u32_e32 v1, vcc, v56, v1, vcc
	v_accvgpr_read_b32 v15, a1
	flat_store_dword v[0:1], v4
	s_mov_b32 s14, 0
	s_mov_b64 s[4:5], 0
	v_mov_b32_e32 v6, -1
	v_mov_b32_e32 v1, 0
	v_mov_b32_e32 v5, -1
	v_accvgpr_read_b32 v14, a0
	s_branch .LBB6_1317
.LBB6_1314:                             ;   in Loop: Header=BB6_1317 Depth=1
	s_or_b64 exec, exec, s[10:11]
.LBB6_1315:                             ;   in Loop: Header=BB6_1317 Depth=1
	s_or_b64 exec, exec, s[8:9]
	v_max_i32_e32 v0, 1, v6
	v_mov_b32_e32 v2, s14
	v_cmp_lt_i32_e32 vcc, v0, v7
	v_cndmask_b32_e32 v5, v5, v2, vcc
	v_cndmask_b32_e32 v6, v6, v7, vcc
.LBB6_1316:                             ;   in Loop: Header=BB6_1317 Depth=1
	s_or_b64 exec, exec, s[6:7]
	s_add_i32 s14, s14, 1
	v_cmp_eq_u32_e32 vcc, s14, v41
	s_or_b64 s[4:5], vcc, s[4:5]
	s_andn2_b64 exec, exec, s[4:5]
	s_cbranch_execz .LBB6_1327
.LBB6_1317:                             ; =>This Loop Header: Depth=1
                                        ;     Child Loop BB6_1321 Depth 2
                                        ;     Child Loop BB6_1325 Depth 2
	v_lshrrev_b32_e32 v0, s14, v4
	v_and_b32_e32 v0, 1, v0
	v_cmp_eq_u32_e32 vcc, 1, v0
	s_and_saveexec_b64 s[6:7], vcc
	s_cbranch_execz .LBB6_1316
; %bb.1318:                             ;   in Loop: Header=BB6_1317 Depth=1
	flat_load_dword v8, v[14:15] offset:4
	v_mov_b32_e32 v7, 0
	s_waitcnt vmcnt(0) lgkmcnt(0)
	v_cmp_lt_i32_e32 vcc, 0, v8
	s_and_saveexec_b64 s[8:9], vcc
	s_cbranch_execz .LBB6_1315
; %bb.1319:                             ;   in Loop: Header=BB6_1317 Depth=1
	v_cmp_ne_u32_e32 vcc, 1, v8
	s_mov_b64 s[12:13], -1
	v_mov_b32_e32 v0, 0
	v_mov_b32_e32 v7, 0
	s_and_saveexec_b64 s[10:11], vcc
	s_cbranch_execz .LBB6_1323
; %bb.1320:                             ;   in Loop: Header=BB6_1317 Depth=1
	v_and_b32_e32 v0, 0x7ffffffe, v8
	s_mov_b32 s15, s14
	s_mov_b64 s[12:13], 0
	v_mov_b32_e32 v7, 0
	v_mov_b32_e32 v9, v0
	v_pk_mov_b32 v[2:3], v[58:59], v[58:59] op_sel:[0,1]
	v_mov_b32_e32 v10, 0
.LBB6_1321:                             ;   Parent Loop BB6_1317 Depth=1
                                        ; =>  This Inner Loop Header: Depth=2
	flat_load_dwordx2 v[12:13], v[2:3]
	v_add_co_u32_e32 v2, vcc, 8, v2
	v_addc_co_u32_e32 v3, vcc, 0, v3, vcc
	v_add_u32_e32 v9, -2, v9
	v_cmp_eq_u32_e32 vcc, 0, v9
	s_or_b64 s[12:13], vcc, s[12:13]
	s_waitcnt vmcnt(0) lgkmcnt(0)
	v_bfe_u32 v11, v12, s14, 1
	v_bfe_u32 v12, v13, s15, 1
	v_add_u32_e32 v10, v12, v10
	v_add_u32_e32 v7, v11, v7
	s_andn2_b64 exec, exec, s[12:13]
	s_cbranch_execnz .LBB6_1321
; %bb.1322:                             ;   in Loop: Header=BB6_1317 Depth=1
	s_or_b64 exec, exec, s[12:13]
	v_cmp_ne_u32_e32 vcc, v8, v0
	v_add_u32_e32 v7, v7, v10
	s_orn2_b64 s[12:13], vcc, exec
.LBB6_1323:                             ;   in Loop: Header=BB6_1317 Depth=1
	s_or_b64 exec, exec, s[10:11]
	s_and_saveexec_b64 s[10:11], s[12:13]
	s_cbranch_execz .LBB6_1314
; %bb.1324:                             ;   in Loop: Header=BB6_1317 Depth=1
	v_lshlrev_b64 v[2:3], 2, v[0:1]
	v_add_co_u32_e32 v2, vcc, v58, v2
	v_sub_u32_e32 v8, v8, v0
	v_addc_co_u32_e32 v3, vcc, v59, v3, vcc
	s_mov_b64 s[12:13], 0
.LBB6_1325:                             ;   Parent Loop BB6_1317 Depth=1
                                        ; =>  This Inner Loop Header: Depth=2
	flat_load_dword v0, v[2:3]
	v_add_co_u32_e32 v2, vcc, 4, v2
	v_add_u32_e32 v8, -1, v8
	v_addc_co_u32_e32 v3, vcc, 0, v3, vcc
	v_cmp_eq_u32_e32 vcc, 0, v8
	s_or_b64 s[12:13], vcc, s[12:13]
	s_waitcnt vmcnt(0) lgkmcnt(0)
	v_bfe_u32 v0, v0, s14, 1
	v_add_u32_e32 v7, v0, v7
	s_andn2_b64 exec, exec, s[12:13]
	s_cbranch_execnz .LBB6_1325
; %bb.1326:                             ;   in Loop: Header=BB6_1317 Depth=1
	s_or_b64 exec, exec, s[12:13]
	s_branch .LBB6_1314
.LBB6_1327:
	s_or_b64 exec, exec, s[4:5]
	v_accvgpr_read_b32 v0, a32
	v_accvgpr_read_b32 v1, a33
	flat_load_dword v0, v[0:1]
	s_movk_i32 s4, 0x2000
	v_readlane_b32 s28, v62, 42
	s_mov_b64 s[26:27], 0
	v_readlane_b32 s29, v62, 43
                                        ; implicit-def: $vgpr40
	s_waitcnt vmcnt(0) lgkmcnt(0)
	v_cmp_gt_i32_e32 vcc, s4, v0
	s_and_saveexec_b64 s[4:5], vcc
	s_xor_b64 s[70:71], exec, s[4:5]
	s_cbranch_execz .LBB6_2524
; %bb.1328:
	v_accvgpr_read_b32 v2, a32
	v_add_u32_e32 v1, 1, v0
	v_accvgpr_read_b32 v3, a33
	flat_store_dword v[2:3], v1
	v_ashrrev_i32_e32 v1, 31, v0
	v_lshlrev_b64 v[0:1], 2, v[0:1]
	v_add_co_u32_e32 v54, vcc, v45, v0
	v_lshlrev_b32_e64 v57, v5, 1
	v_addc_co_u32_e32 v55, vcc, v56, v1, vcc
	v_accvgpr_read_b32 v0, a0
	flat_store_dword v[54:55], v57
	v_accvgpr_read_b32 v1, a1
	flat_load_dword v44, v[0:1] offset:4
	v_readlane_b32 s72, v62, 42
	v_mov_b32_e32 v0, 0
	s_mov_b64 s[4:5], -1
	v_pk_mov_b32 v[42:43], 0, 0
	v_readlane_b32 s73, v62, 43
	buffer_store_dword v0, off, s[0:3], s33 offset:84
	s_waitcnt vmcnt(0) lgkmcnt(0)
	v_cmp_lt_i32_e64 s[26:27], 0, v44
	s_and_saveexec_b64 s[28:29], s[26:27]
	s_cbranch_execz .LBB6_2149
; %bb.1329:
	v_accvgpr_read_b32 v0, a32
	v_accvgpr_read_b32 v1, a33
	flat_load_dword v0, v[0:1]
	s_movk_i32 s4, 0x2001
	s_mov_b64 s[34:35], 0
	v_pk_mov_b32 v[42:43], 0, 0
	s_waitcnt vmcnt(0) lgkmcnt(0)
	v_add_u32_e32 v0, v0, v44
	v_cmp_gt_i32_e32 vcc, s4, v0
	s_and_saveexec_b64 s[4:5], vcc
	s_xor_b64 s[4:5], exec, s[4:5]
	s_cbranch_execz .LBB6_1331
; %bb.1330:
	v_accvgpr_read_b32 v2, a32
	v_accvgpr_read_b32 v3, a33
	v_ashrrev_i32_e32 v1, 31, v0
	flat_store_dword v[2:3], v0
	v_lshlrev_b64 v[0:1], 2, v[0:1]
	v_add_co_u32_e32 v2, vcc, v2, v0
	v_mov_b32_e32 v45, 0
	v_addc_co_u32_e32 v3, vcc, v3, v1, vcc
	v_lshlrev_b64 v[0:1], 2, v[44:45]
	v_sub_co_u32_e32 v0, vcc, v2, v0
	v_subb_co_u32_e32 v1, vcc, v3, v1, vcc
	v_add_co_u32_e32 v42, vcc, 4, v0
	s_mov_b64 s[34:35], exec
	v_addc_co_u32_e32 v43, vcc, 0, v1, vcc
.LBB6_1331:
	s_or_saveexec_b64 s[36:37], s[4:5]
	v_readlane_b32 s4, v62, 42
	v_readlane_b32 s5, v62, 43
	s_xor_b64 exec, exec, s[36:37]
	s_cbranch_execz .LBB6_2148
; %bb.1332:
	s_load_dwordx2 s[6:7], s[48:49], 0x50
	v_mbcnt_lo_u32_b32 v0, -1, 0
	v_mbcnt_hi_u32_b32 v31, -1, v0
	v_readfirstlane_b32 s4, v31
	v_cmp_eq_u32_e64 s[4:5], s4, v31
	v_pk_mov_b32 v[6:7], 0, 0
	s_and_saveexec_b64 s[8:9], s[4:5]
	s_cbranch_execz .LBB6_1338
; %bb.1333:
	v_mov_b32_e32 v0, 0
	s_waitcnt lgkmcnt(0)
	global_load_dwordx2 v[4:5], v0, s[6:7] offset:24 glc
	s_waitcnt vmcnt(0)
	buffer_invl2
	buffer_wbinvl1_vol
	global_load_dwordx2 v[2:3], v0, s[6:7] offset:40
	global_load_dwordx2 v[6:7], v0, s[6:7]
	s_waitcnt vmcnt(1)
	v_and_b32_e32 v1, v2, v4
	v_and_b32_e32 v2, v3, v5
	v_mul_lo_u32 v2, v2, 24
	v_mul_hi_u32 v3, v1, 24
	v_mul_lo_u32 v1, v1, 24
	v_add_u32_e32 v3, v3, v2
	s_waitcnt vmcnt(0)
	v_add_co_u32_e32 v2, vcc, v6, v1
	v_addc_co_u32_e32 v3, vcc, v7, v3, vcc
	global_load_dwordx2 v[2:3], v[2:3], off glc
	s_waitcnt vmcnt(0)
	global_atomic_cmpswap_x2 v[6:7], v0, v[2:5], s[6:7] offset:24 glc
	s_waitcnt vmcnt(0)
	buffer_invl2
	buffer_wbinvl1_vol
	v_cmp_ne_u64_e32 vcc, v[6:7], v[4:5]
	s_and_saveexec_b64 s[10:11], vcc
	s_cbranch_execz .LBB6_1337
; %bb.1334:
	s_mov_b64 s[12:13], 0
.LBB6_1335:                             ; =>This Inner Loop Header: Depth=1
	s_sleep 1
	global_load_dwordx2 v[2:3], v0, s[6:7] offset:40
	global_load_dwordx2 v[8:9], v0, s[6:7]
	v_pk_mov_b32 v[4:5], v[6:7], v[6:7] op_sel:[0,1]
	s_waitcnt vmcnt(1)
	v_and_b32_e32 v2, v2, v4
	v_and_b32_e32 v1, v3, v5
	s_waitcnt vmcnt(0)
	v_mad_u64_u32 v[2:3], s[14:15], v2, 24, v[8:9]
	v_mov_b32_e32 v6, v3
	v_mad_u64_u32 v[6:7], s[14:15], v1, 24, v[6:7]
	v_mov_b32_e32 v3, v6
	global_load_dwordx2 v[2:3], v[2:3], off glc
	s_waitcnt vmcnt(0)
	global_atomic_cmpswap_x2 v[6:7], v0, v[2:5], s[6:7] offset:24 glc
	s_waitcnt vmcnt(0)
	buffer_invl2
	buffer_wbinvl1_vol
	v_cmp_eq_u64_e32 vcc, v[6:7], v[4:5]
	s_or_b64 s[12:13], vcc, s[12:13]
	s_andn2_b64 exec, exec, s[12:13]
	s_cbranch_execnz .LBB6_1335
; %bb.1336:
	s_or_b64 exec, exec, s[12:13]
.LBB6_1337:
	s_or_b64 exec, exec, s[10:11]
.LBB6_1338:
	s_or_b64 exec, exec, s[8:9]
	v_mov_b32_e32 v5, 0
	s_waitcnt lgkmcnt(0)
	global_load_dwordx2 v[8:9], v5, s[6:7] offset:40
	global_load_dwordx4 v[0:3], v5, s[6:7]
	v_readfirstlane_b32 s8, v6
	v_readfirstlane_b32 s9, v7
	s_mov_b64 s[10:11], exec
	s_waitcnt vmcnt(0)
	v_readfirstlane_b32 s12, v8
	v_readfirstlane_b32 s13, v9
	s_and_b64 s[12:13], s[8:9], s[12:13]
	s_mul_i32 s14, s13, 24
	s_mul_hi_u32 s15, s12, 24
	s_mul_i32 s16, s12, 24
	s_add_i32 s14, s15, s14
	v_mov_b32_e32 v4, s14
	v_add_co_u32_e32 v8, vcc, s16, v0
	v_addc_co_u32_e32 v9, vcc, v1, v4, vcc
	s_and_saveexec_b64 s[14:15], s[4:5]
	s_cbranch_execz .LBB6_1340
; %bb.1339:
	v_pk_mov_b32 v[10:11], s[10:11], s[10:11] op_sel:[0,1]
	v_mov_b32_e32 v12, 2
	v_mov_b32_e32 v13, 1
	global_store_dwordx4 v[8:9], v[10:13], off offset:8
.LBB6_1340:
	s_or_b64 exec, exec, s[14:15]
	s_lshl_b64 s[10:11], s[12:13], 12
	v_mov_b32_e32 v4, s11
	v_add_co_u32_e32 v2, vcc, s10, v2
	v_addc_co_u32_e32 v3, vcc, v3, v4, vcc
	s_mov_b32 s12, 0
	v_lshlrev_b32_e32 v30, 6, v31
	v_add_co_u32_e32 v10, vcc, v2, v30
	v_mov_b32_e32 v4, 33
	v_mov_b32_e32 v6, v5
	;; [unrolled: 1-line block ×3, first 2 shown]
	v_readfirstlane_b32 s10, v2
	v_readfirstlane_b32 s11, v3
	s_mov_b32 s13, s12
	v_addc_co_u32_e32 v11, vcc, 0, v3, vcc
	s_mov_b32 s14, s12
	s_mov_b32 s15, s12
	s_nop 0
	global_store_dwordx4 v30, v[4:7], s[10:11]
	v_pk_mov_b32 v[2:3], s[12:13], s[12:13] op_sel:[0,1]
	v_pk_mov_b32 v[4:5], s[14:15], s[14:15] op_sel:[0,1]
	global_store_dwordx4 v30, v[2:5], s[10:11] offset:16
	global_store_dwordx4 v30, v[2:5], s[10:11] offset:32
	;; [unrolled: 1-line block ×3, first 2 shown]
	s_and_saveexec_b64 s[10:11], s[4:5]
	s_cbranch_execz .LBB6_1348
; %bb.1341:
	v_mov_b32_e32 v6, 0
	global_load_dwordx2 v[14:15], v6, s[6:7] offset:32 glc
	global_load_dwordx2 v[2:3], v6, s[6:7] offset:40
	v_mov_b32_e32 v12, s8
	v_mov_b32_e32 v13, s9
	s_waitcnt vmcnt(0)
	v_and_b32_e32 v2, s8, v2
	v_and_b32_e32 v3, s9, v3
	v_mul_lo_u32 v3, v3, 24
	v_mul_hi_u32 v4, v2, 24
	v_mul_lo_u32 v2, v2, 24
	v_add_u32_e32 v3, v4, v3
	v_add_co_u32_e32 v4, vcc, v0, v2
	v_addc_co_u32_e32 v5, vcc, v1, v3, vcc
	global_store_dwordx2 v[4:5], v[14:15], off
	buffer_wbl2
	s_waitcnt vmcnt(0)
	global_atomic_cmpswap_x2 v[2:3], v6, v[12:15], s[6:7] offset:32 glc
	s_waitcnt vmcnt(0)
	v_cmp_ne_u64_e32 vcc, v[2:3], v[14:15]
	s_and_saveexec_b64 s[12:13], vcc
	s_cbranch_execz .LBB6_1344
; %bb.1342:
	s_mov_b64 s[14:15], 0
.LBB6_1343:                             ; =>This Inner Loop Header: Depth=1
	s_sleep 1
	global_store_dwordx2 v[4:5], v[2:3], off
	v_mov_b32_e32 v0, s8
	v_mov_b32_e32 v1, s9
	buffer_wbl2
	s_waitcnt vmcnt(0)
	global_atomic_cmpswap_x2 v[0:1], v6, v[0:3], s[6:7] offset:32 glc
	s_waitcnt vmcnt(0)
	v_cmp_eq_u64_e32 vcc, v[0:1], v[2:3]
	s_or_b64 s[14:15], vcc, s[14:15]
	v_pk_mov_b32 v[2:3], v[0:1], v[0:1] op_sel:[0,1]
	s_andn2_b64 exec, exec, s[14:15]
	s_cbranch_execnz .LBB6_1343
.LBB6_1344:
	s_or_b64 exec, exec, s[12:13]
	v_mov_b32_e32 v3, 0
	global_load_dwordx2 v[0:1], v3, s[6:7] offset:16
	s_mov_b64 s[12:13], exec
	v_mbcnt_lo_u32_b32 v2, s12, 0
	v_mbcnt_hi_u32_b32 v2, s13, v2
	v_cmp_eq_u32_e32 vcc, 0, v2
	s_and_saveexec_b64 s[14:15], vcc
	s_cbranch_execz .LBB6_1346
; %bb.1345:
	s_bcnt1_i32_b64 s12, s[12:13]
	v_mov_b32_e32 v2, s12
	buffer_wbl2
	s_waitcnt vmcnt(0)
	global_atomic_add_x2 v[0:1], v[2:3], off offset:8
.LBB6_1346:
	s_or_b64 exec, exec, s[14:15]
	s_waitcnt vmcnt(0)
	global_load_dwordx2 v[2:3], v[0:1], off offset:16
	s_waitcnt vmcnt(0)
	v_cmp_eq_u64_e32 vcc, 0, v[2:3]
	s_cbranch_vccnz .LBB6_1348
; %bb.1347:
	global_load_dword v0, v[0:1], off offset:24
	v_mov_b32_e32 v1, 0
	buffer_wbl2
	s_waitcnt vmcnt(0)
	global_store_dwordx2 v[2:3], v[0:1], off
	v_and_b32_e32 v0, 0xffffff, v0
	v_readfirstlane_b32 m0, v0
	s_sendmsg sendmsg(MSG_INTERRUPT)
.LBB6_1348:
	s_or_b64 exec, exec, s[10:11]
	s_branch .LBB6_1350
.LBB6_1349:
	s_branch .LBB6_1354
.LBB6_1350:                             ; =>This Inner Loop Header: Depth=1
	v_mov_b32_e32 v0, 1
	s_and_saveexec_b64 s[10:11], s[4:5]
	s_cbranch_execz .LBB6_1352
; %bb.1351:                             ;   in Loop: Header=BB6_1350 Depth=1
	global_load_dword v0, v[8:9], off offset:20 glc
	s_waitcnt vmcnt(0)
	buffer_invl2
	buffer_wbinvl1_vol
	v_and_b32_e32 v0, 1, v0
.LBB6_1352:                             ;   in Loop: Header=BB6_1350 Depth=1
	s_or_b64 exec, exec, s[10:11]
	v_readfirstlane_b32 s10, v0
	s_cmp_eq_u32 s10, 0
	s_cbranch_scc1 .LBB6_1349
; %bb.1353:                             ;   in Loop: Header=BB6_1350 Depth=1
	s_sleep 1
	s_cbranch_execnz .LBB6_1350
.LBB6_1354:
	global_load_dwordx2 v[0:1], v[10:11], off
	s_and_saveexec_b64 s[10:11], s[4:5]
	s_cbranch_execz .LBB6_1357
; %bb.1355:
	v_mov_b32_e32 v8, 0
	global_load_dwordx2 v[6:7], v8, s[6:7] offset:40
	global_load_dwordx2 v[10:11], v8, s[6:7] offset:24 glc
	global_load_dwordx2 v[12:13], v8, s[6:7]
	v_mov_b32_e32 v3, s9
	s_mov_b64 s[4:5], 0
	s_waitcnt vmcnt(2)
	v_add_co_u32_e32 v5, vcc, 1, v6
	v_addc_co_u32_e32 v9, vcc, 0, v7, vcc
	v_add_co_u32_e32 v2, vcc, s8, v5
	v_addc_co_u32_e32 v3, vcc, v9, v3, vcc
	v_cmp_eq_u64_e32 vcc, 0, v[2:3]
	v_cndmask_b32_e32 v3, v3, v9, vcc
	v_cndmask_b32_e32 v2, v2, v5, vcc
	v_and_b32_e32 v5, v3, v7
	v_and_b32_e32 v6, v2, v6
	v_mul_lo_u32 v5, v5, 24
	v_mul_hi_u32 v7, v6, 24
	v_mul_lo_u32 v6, v6, 24
	v_add_u32_e32 v5, v7, v5
	s_waitcnt vmcnt(0)
	v_add_co_u32_e32 v6, vcc, v12, v6
	v_addc_co_u32_e32 v7, vcc, v13, v5, vcc
	v_mov_b32_e32 v4, v10
	global_store_dwordx2 v[6:7], v[10:11], off
	v_mov_b32_e32 v5, v11
	buffer_wbl2
	s_waitcnt vmcnt(0)
	global_atomic_cmpswap_x2 v[4:5], v8, v[2:5], s[6:7] offset:24 glc
	s_waitcnt vmcnt(0)
	v_cmp_ne_u64_e32 vcc, v[4:5], v[10:11]
	s_and_b64 exec, exec, vcc
	s_cbranch_execz .LBB6_1357
.LBB6_1356:                             ; =>This Inner Loop Header: Depth=1
	s_sleep 1
	global_store_dwordx2 v[6:7], v[4:5], off
	buffer_wbl2
	s_waitcnt vmcnt(0)
	global_atomic_cmpswap_x2 v[10:11], v8, v[2:5], s[6:7] offset:24 glc
	s_waitcnt vmcnt(0)
	v_cmp_eq_u64_e32 vcc, v[10:11], v[4:5]
	s_or_b64 s[4:5], vcc, s[4:5]
	v_pk_mov_b32 v[4:5], v[10:11], v[10:11] op_sel:[0,1]
	s_andn2_b64 exec, exec, s[4:5]
	s_cbranch_execnz .LBB6_1356
.LBB6_1357:
	s_or_b64 exec, exec, s[10:11]
	s_getpc_b64 s[8:9]
	s_add_u32 s8, s8, .str.28@rel32@lo+4
	s_addc_u32 s9, s9, .str.28@rel32@hi+12
	s_cmp_lg_u64 s[8:9], 0
	s_cbranch_scc0 .LBB6_2119
; %bb.1358:
	s_waitcnt vmcnt(0)
	v_and_b32_e32 v6, -3, v0
	v_mov_b32_e32 v7, v1
	s_mov_b64 s[10:11], 35
	v_mov_b32_e32 v27, 0
	v_mov_b32_e32 v4, 2
	;; [unrolled: 1-line block ×3, first 2 shown]
	s_branch .LBB6_1360
.LBB6_1359:                             ;   in Loop: Header=BB6_1360 Depth=1
	s_or_b64 exec, exec, s[16:17]
	s_sub_u32 s10, s10, s12
	s_subb_u32 s11, s11, s13
	s_add_u32 s8, s8, s12
	s_addc_u32 s9, s9, s13
	s_cmp_lg_u64 s[10:11], 0
	s_cbranch_scc0 .LBB6_2118
.LBB6_1360:                             ; =>This Loop Header: Depth=1
                                        ;     Child Loop BB6_1363 Depth 2
                                        ;     Child Loop BB6_1371 Depth 2
                                        ;     Child Loop BB6_1380 Depth 2
                                        ;     Child Loop BB6_1389 Depth 2
                                        ;     Child Loop BB6_1398 Depth 2
                                        ;     Child Loop BB6_1407 Depth 2
                                        ;     Child Loop BB6_1416 Depth 2
                                        ;     Child Loop BB6_1425 Depth 2
                                        ;     Child Loop BB6_1433 Depth 2
                                        ;     Child Loop BB6_1440 Depth 2
                                        ;     Child Loop BB6_1447 Depth 2
	v_cmp_lt_u64_e64 s[4:5], s[10:11], 56
	s_and_b64 s[4:5], s[4:5], exec
	v_cmp_gt_u64_e64 s[4:5], s[10:11], 7
	s_cselect_b32 s13, s11, 0
	s_cselect_b32 s12, s10, 56
	s_and_b64 vcc, exec, s[4:5]
	s_cbranch_vccnz .LBB6_1365
; %bb.1361:                             ;   in Loop: Header=BB6_1360 Depth=1
	s_mov_b64 s[4:5], 0
	s_cmp_eq_u64 s[10:11], 0
	s_waitcnt vmcnt(0)
	v_pk_mov_b32 v[8:9], 0, 0
	s_cbranch_scc1 .LBB6_1364
; %bb.1362:                             ;   in Loop: Header=BB6_1360 Depth=1
	s_lshl_b64 s[14:15], s[12:13], 3
	s_mov_b64 s[16:17], 0
	v_pk_mov_b32 v[8:9], 0, 0
	s_mov_b64 s[18:19], s[8:9]
.LBB6_1363:                             ;   Parent Loop BB6_1360 Depth=1
                                        ; =>  This Inner Loop Header: Depth=2
	global_load_ubyte v2, v27, s[18:19]
	s_waitcnt vmcnt(0)
	v_and_b32_e32 v26, 0xffff, v2
	v_lshlrev_b64 v[2:3], s16, v[26:27]
	s_add_u32 s16, s16, 8
	s_addc_u32 s17, s17, 0
	s_add_u32 s18, s18, 1
	s_addc_u32 s19, s19, 0
	v_or_b32_e32 v8, v2, v8
	s_cmp_lg_u32 s14, s16
	v_or_b32_e32 v9, v3, v9
	s_cbranch_scc1 .LBB6_1363
.LBB6_1364:                             ;   in Loop: Header=BB6_1360 Depth=1
	s_mov_b32 s18, 0
	s_branch .LBB6_1366
.LBB6_1365:                             ;   in Loop: Header=BB6_1360 Depth=1
	s_mov_b64 s[4:5], -1
                                        ; implicit-def: $sgpr18
.LBB6_1366:                             ;   in Loop: Header=BB6_1360 Depth=1
	s_andn2_b64 vcc, exec, s[4:5]
	s_mov_b64 s[4:5], s[8:9]
	s_cbranch_vccnz .LBB6_1368
; %bb.1367:                             ;   in Loop: Header=BB6_1360 Depth=1
	global_load_dwordx2 v[8:9], v27, s[8:9]
	s_add_i32 s18, s12, -8
	s_add_u32 s4, s8, 8
	s_addc_u32 s5, s9, 0
.LBB6_1368:                             ;   in Loop: Header=BB6_1360 Depth=1
	s_cmp_gt_u32 s18, 7
	s_cbranch_scc1 .LBB6_1372
; %bb.1369:                             ;   in Loop: Header=BB6_1360 Depth=1
	s_cmp_eq_u32 s18, 0
	s_cbranch_scc1 .LBB6_1373
; %bb.1370:                             ;   in Loop: Header=BB6_1360 Depth=1
	s_mov_b64 s[14:15], 0
	v_pk_mov_b32 v[10:11], 0, 0
	s_mov_b64 s[16:17], 0
.LBB6_1371:                             ;   Parent Loop BB6_1360 Depth=1
                                        ; =>  This Inner Loop Header: Depth=2
	s_add_u32 s20, s4, s16
	s_addc_u32 s21, s5, s17
	global_load_ubyte v2, v27, s[20:21]
	s_add_u32 s16, s16, 1
	s_addc_u32 s17, s17, 0
	s_waitcnt vmcnt(0)
	v_and_b32_e32 v26, 0xffff, v2
	v_lshlrev_b64 v[2:3], s14, v[26:27]
	s_add_u32 s14, s14, 8
	s_addc_u32 s15, s15, 0
	v_or_b32_e32 v10, v2, v10
	s_cmp_lg_u32 s18, s16
	v_or_b32_e32 v11, v3, v11
	s_cbranch_scc1 .LBB6_1371
	s_branch .LBB6_1374
.LBB6_1372:                             ;   in Loop: Header=BB6_1360 Depth=1
	s_mov_b64 s[14:15], -1
                                        ; implicit-def: $vgpr10_vgpr11
                                        ; implicit-def: $sgpr19
	s_branch .LBB6_1375
.LBB6_1373:                             ;   in Loop: Header=BB6_1360 Depth=1
	v_pk_mov_b32 v[10:11], 0, 0
.LBB6_1374:                             ;   in Loop: Header=BB6_1360 Depth=1
	s_mov_b64 s[14:15], 0
	s_mov_b32 s19, 0
.LBB6_1375:                             ;   in Loop: Header=BB6_1360 Depth=1
	s_andn2_b64 vcc, exec, s[14:15]
	s_cbranch_vccnz .LBB6_1377
; %bb.1376:                             ;   in Loop: Header=BB6_1360 Depth=1
	global_load_dwordx2 v[10:11], v27, s[4:5]
	s_add_i32 s19, s18, -8
	s_add_u32 s4, s4, 8
	s_addc_u32 s5, s5, 0
.LBB6_1377:                             ;   in Loop: Header=BB6_1360 Depth=1
	s_cmp_gt_u32 s19, 7
	s_cbranch_scc1 .LBB6_1381
; %bb.1378:                             ;   in Loop: Header=BB6_1360 Depth=1
	s_cmp_eq_u32 s19, 0
	s_cbranch_scc1 .LBB6_1382
; %bb.1379:                             ;   in Loop: Header=BB6_1360 Depth=1
	s_mov_b64 s[14:15], 0
	v_pk_mov_b32 v[12:13], 0, 0
	s_mov_b64 s[16:17], 0
.LBB6_1380:                             ;   Parent Loop BB6_1360 Depth=1
                                        ; =>  This Inner Loop Header: Depth=2
	s_add_u32 s20, s4, s16
	s_addc_u32 s21, s5, s17
	global_load_ubyte v2, v27, s[20:21]
	s_add_u32 s16, s16, 1
	s_addc_u32 s17, s17, 0
	s_waitcnt vmcnt(0)
	v_and_b32_e32 v26, 0xffff, v2
	v_lshlrev_b64 v[2:3], s14, v[26:27]
	s_add_u32 s14, s14, 8
	s_addc_u32 s15, s15, 0
	v_or_b32_e32 v12, v2, v12
	s_cmp_lg_u32 s19, s16
	v_or_b32_e32 v13, v3, v13
	s_cbranch_scc1 .LBB6_1380
	s_branch .LBB6_1383
.LBB6_1381:                             ;   in Loop: Header=BB6_1360 Depth=1
	s_mov_b64 s[14:15], -1
                                        ; implicit-def: $sgpr18
	s_branch .LBB6_1384
.LBB6_1382:                             ;   in Loop: Header=BB6_1360 Depth=1
	v_pk_mov_b32 v[12:13], 0, 0
.LBB6_1383:                             ;   in Loop: Header=BB6_1360 Depth=1
	s_mov_b64 s[14:15], 0
	s_mov_b32 s18, 0
.LBB6_1384:                             ;   in Loop: Header=BB6_1360 Depth=1
	s_andn2_b64 vcc, exec, s[14:15]
	s_cbranch_vccnz .LBB6_1386
; %bb.1385:                             ;   in Loop: Header=BB6_1360 Depth=1
	global_load_dwordx2 v[12:13], v27, s[4:5]
	s_add_i32 s18, s19, -8
	s_add_u32 s4, s4, 8
	s_addc_u32 s5, s5, 0
.LBB6_1386:                             ;   in Loop: Header=BB6_1360 Depth=1
	s_cmp_gt_u32 s18, 7
	s_cbranch_scc1 .LBB6_1390
; %bb.1387:                             ;   in Loop: Header=BB6_1360 Depth=1
	s_cmp_eq_u32 s18, 0
	s_cbranch_scc1 .LBB6_1391
; %bb.1388:                             ;   in Loop: Header=BB6_1360 Depth=1
	s_mov_b64 s[14:15], 0
	v_pk_mov_b32 v[14:15], 0, 0
	s_mov_b64 s[16:17], 0
.LBB6_1389:                             ;   Parent Loop BB6_1360 Depth=1
                                        ; =>  This Inner Loop Header: Depth=2
	s_add_u32 s20, s4, s16
	s_addc_u32 s21, s5, s17
	global_load_ubyte v2, v27, s[20:21]
	s_add_u32 s16, s16, 1
	s_addc_u32 s17, s17, 0
	s_waitcnt vmcnt(0)
	v_and_b32_e32 v26, 0xffff, v2
	v_lshlrev_b64 v[2:3], s14, v[26:27]
	s_add_u32 s14, s14, 8
	s_addc_u32 s15, s15, 0
	v_or_b32_e32 v14, v2, v14
	s_cmp_lg_u32 s18, s16
	v_or_b32_e32 v15, v3, v15
	s_cbranch_scc1 .LBB6_1389
	s_branch .LBB6_1392
.LBB6_1390:                             ;   in Loop: Header=BB6_1360 Depth=1
	s_mov_b64 s[14:15], -1
                                        ; implicit-def: $vgpr14_vgpr15
                                        ; implicit-def: $sgpr19
	s_branch .LBB6_1393
.LBB6_1391:                             ;   in Loop: Header=BB6_1360 Depth=1
	v_pk_mov_b32 v[14:15], 0, 0
.LBB6_1392:                             ;   in Loop: Header=BB6_1360 Depth=1
	s_mov_b64 s[14:15], 0
	s_mov_b32 s19, 0
.LBB6_1393:                             ;   in Loop: Header=BB6_1360 Depth=1
	s_andn2_b64 vcc, exec, s[14:15]
	s_cbranch_vccnz .LBB6_1395
; %bb.1394:                             ;   in Loop: Header=BB6_1360 Depth=1
	global_load_dwordx2 v[14:15], v27, s[4:5]
	s_add_i32 s19, s18, -8
	s_add_u32 s4, s4, 8
	s_addc_u32 s5, s5, 0
.LBB6_1395:                             ;   in Loop: Header=BB6_1360 Depth=1
	s_cmp_gt_u32 s19, 7
	s_cbranch_scc1 .LBB6_1399
; %bb.1396:                             ;   in Loop: Header=BB6_1360 Depth=1
	s_cmp_eq_u32 s19, 0
	s_cbranch_scc1 .LBB6_1400
; %bb.1397:                             ;   in Loop: Header=BB6_1360 Depth=1
	s_mov_b64 s[14:15], 0
	v_pk_mov_b32 v[16:17], 0, 0
	s_mov_b64 s[16:17], 0
.LBB6_1398:                             ;   Parent Loop BB6_1360 Depth=1
                                        ; =>  This Inner Loop Header: Depth=2
	s_add_u32 s20, s4, s16
	s_addc_u32 s21, s5, s17
	global_load_ubyte v2, v27, s[20:21]
	s_add_u32 s16, s16, 1
	s_addc_u32 s17, s17, 0
	s_waitcnt vmcnt(0)
	v_and_b32_e32 v26, 0xffff, v2
	v_lshlrev_b64 v[2:3], s14, v[26:27]
	s_add_u32 s14, s14, 8
	s_addc_u32 s15, s15, 0
	v_or_b32_e32 v16, v2, v16
	s_cmp_lg_u32 s19, s16
	v_or_b32_e32 v17, v3, v17
	s_cbranch_scc1 .LBB6_1398
	s_branch .LBB6_1401
.LBB6_1399:                             ;   in Loop: Header=BB6_1360 Depth=1
	s_mov_b64 s[14:15], -1
                                        ; implicit-def: $sgpr18
	s_branch .LBB6_1402
.LBB6_1400:                             ;   in Loop: Header=BB6_1360 Depth=1
	v_pk_mov_b32 v[16:17], 0, 0
.LBB6_1401:                             ;   in Loop: Header=BB6_1360 Depth=1
	s_mov_b64 s[14:15], 0
	s_mov_b32 s18, 0
.LBB6_1402:                             ;   in Loop: Header=BB6_1360 Depth=1
	s_andn2_b64 vcc, exec, s[14:15]
	s_cbranch_vccnz .LBB6_1404
; %bb.1403:                             ;   in Loop: Header=BB6_1360 Depth=1
	global_load_dwordx2 v[16:17], v27, s[4:5]
	s_add_i32 s18, s19, -8
	s_add_u32 s4, s4, 8
	s_addc_u32 s5, s5, 0
.LBB6_1404:                             ;   in Loop: Header=BB6_1360 Depth=1
	s_cmp_gt_u32 s18, 7
	s_cbranch_scc1 .LBB6_1408
; %bb.1405:                             ;   in Loop: Header=BB6_1360 Depth=1
	s_cmp_eq_u32 s18, 0
	s_cbranch_scc1 .LBB6_1409
; %bb.1406:                             ;   in Loop: Header=BB6_1360 Depth=1
	s_mov_b64 s[14:15], 0
	v_pk_mov_b32 v[18:19], 0, 0
	s_mov_b64 s[16:17], 0
.LBB6_1407:                             ;   Parent Loop BB6_1360 Depth=1
                                        ; =>  This Inner Loop Header: Depth=2
	s_add_u32 s20, s4, s16
	s_addc_u32 s21, s5, s17
	global_load_ubyte v2, v27, s[20:21]
	s_add_u32 s16, s16, 1
	s_addc_u32 s17, s17, 0
	s_waitcnt vmcnt(0)
	v_and_b32_e32 v26, 0xffff, v2
	v_lshlrev_b64 v[2:3], s14, v[26:27]
	s_add_u32 s14, s14, 8
	s_addc_u32 s15, s15, 0
	v_or_b32_e32 v18, v2, v18
	s_cmp_lg_u32 s18, s16
	v_or_b32_e32 v19, v3, v19
	s_cbranch_scc1 .LBB6_1407
	s_branch .LBB6_1410
.LBB6_1408:                             ;   in Loop: Header=BB6_1360 Depth=1
	s_mov_b64 s[14:15], -1
                                        ; implicit-def: $vgpr18_vgpr19
                                        ; implicit-def: $sgpr19
	s_branch .LBB6_1411
.LBB6_1409:                             ;   in Loop: Header=BB6_1360 Depth=1
	v_pk_mov_b32 v[18:19], 0, 0
.LBB6_1410:                             ;   in Loop: Header=BB6_1360 Depth=1
	s_mov_b64 s[14:15], 0
	s_mov_b32 s19, 0
.LBB6_1411:                             ;   in Loop: Header=BB6_1360 Depth=1
	s_andn2_b64 vcc, exec, s[14:15]
	s_cbranch_vccnz .LBB6_1413
; %bb.1412:                             ;   in Loop: Header=BB6_1360 Depth=1
	global_load_dwordx2 v[18:19], v27, s[4:5]
	s_add_i32 s19, s18, -8
	s_add_u32 s4, s4, 8
	s_addc_u32 s5, s5, 0
.LBB6_1413:                             ;   in Loop: Header=BB6_1360 Depth=1
	s_cmp_gt_u32 s19, 7
	s_cbranch_scc1 .LBB6_1417
; %bb.1414:                             ;   in Loop: Header=BB6_1360 Depth=1
	s_cmp_eq_u32 s19, 0
	s_cbranch_scc1 .LBB6_1418
; %bb.1415:                             ;   in Loop: Header=BB6_1360 Depth=1
	s_mov_b64 s[14:15], 0
	v_pk_mov_b32 v[20:21], 0, 0
	s_mov_b64 s[16:17], s[4:5]
.LBB6_1416:                             ;   Parent Loop BB6_1360 Depth=1
                                        ; =>  This Inner Loop Header: Depth=2
	global_load_ubyte v2, v27, s[16:17]
	s_add_i32 s19, s19, -1
	s_waitcnt vmcnt(0)
	v_and_b32_e32 v26, 0xffff, v2
	v_lshlrev_b64 v[2:3], s14, v[26:27]
	s_add_u32 s14, s14, 8
	s_addc_u32 s15, s15, 0
	s_add_u32 s16, s16, 1
	s_addc_u32 s17, s17, 0
	v_or_b32_e32 v20, v2, v20
	s_cmp_lg_u32 s19, 0
	v_or_b32_e32 v21, v3, v21
	s_cbranch_scc1 .LBB6_1416
	s_branch .LBB6_1419
.LBB6_1417:                             ;   in Loop: Header=BB6_1360 Depth=1
	s_mov_b64 s[14:15], -1
	s_branch .LBB6_1420
.LBB6_1418:                             ;   in Loop: Header=BB6_1360 Depth=1
	v_pk_mov_b32 v[20:21], 0, 0
.LBB6_1419:                             ;   in Loop: Header=BB6_1360 Depth=1
	s_mov_b64 s[14:15], 0
.LBB6_1420:                             ;   in Loop: Header=BB6_1360 Depth=1
	s_andn2_b64 vcc, exec, s[14:15]
	s_cbranch_vccnz .LBB6_1422
; %bb.1421:                             ;   in Loop: Header=BB6_1360 Depth=1
	global_load_dwordx2 v[20:21], v27, s[4:5]
.LBB6_1422:                             ;   in Loop: Header=BB6_1360 Depth=1
	v_readfirstlane_b32 s4, v31
	v_cmp_eq_u32_e64 s[4:5], s4, v31
	v_pk_mov_b32 v[2:3], 0, 0
	s_and_saveexec_b64 s[14:15], s[4:5]
	s_cbranch_execz .LBB6_1428
; %bb.1423:                             ;   in Loop: Header=BB6_1360 Depth=1
	global_load_dwordx2 v[24:25], v27, s[6:7] offset:24 glc
	s_waitcnt vmcnt(0)
	buffer_invl2
	buffer_wbinvl1_vol
	global_load_dwordx2 v[2:3], v27, s[6:7] offset:40
	global_load_dwordx2 v[22:23], v27, s[6:7]
	s_waitcnt vmcnt(1)
	v_and_b32_e32 v2, v2, v24
	v_and_b32_e32 v3, v3, v25
	v_mul_lo_u32 v3, v3, 24
	v_mul_hi_u32 v26, v2, 24
	v_mul_lo_u32 v2, v2, 24
	v_add_u32_e32 v3, v26, v3
	s_waitcnt vmcnt(0)
	v_add_co_u32_e32 v2, vcc, v22, v2
	v_addc_co_u32_e32 v3, vcc, v23, v3, vcc
	global_load_dwordx2 v[22:23], v[2:3], off glc
	s_waitcnt vmcnt(0)
	global_atomic_cmpswap_x2 v[2:3], v27, v[22:25], s[6:7] offset:24 glc
	s_waitcnt vmcnt(0)
	buffer_invl2
	buffer_wbinvl1_vol
	v_cmp_ne_u64_e32 vcc, v[2:3], v[24:25]
	s_and_saveexec_b64 s[16:17], vcc
	s_cbranch_execz .LBB6_1427
; %bb.1424:                             ;   in Loop: Header=BB6_1360 Depth=1
	s_mov_b64 s[18:19], 0
.LBB6_1425:                             ;   Parent Loop BB6_1360 Depth=1
                                        ; =>  This Inner Loop Header: Depth=2
	s_sleep 1
	global_load_dwordx2 v[22:23], v27, s[6:7] offset:40
	global_load_dwordx2 v[28:29], v27, s[6:7]
	v_pk_mov_b32 v[24:25], v[2:3], v[2:3] op_sel:[0,1]
	s_waitcnt vmcnt(1)
	v_and_b32_e32 v2, v22, v24
	s_waitcnt vmcnt(0)
	v_mad_u64_u32 v[2:3], s[20:21], v2, 24, v[28:29]
	v_and_b32_e32 v23, v23, v25
	v_mov_b32_e32 v22, v3
	v_mad_u64_u32 v[22:23], s[20:21], v23, 24, v[22:23]
	v_mov_b32_e32 v3, v22
	global_load_dwordx2 v[22:23], v[2:3], off glc
	s_waitcnt vmcnt(0)
	global_atomic_cmpswap_x2 v[2:3], v27, v[22:25], s[6:7] offset:24 glc
	s_waitcnt vmcnt(0)
	buffer_invl2
	buffer_wbinvl1_vol
	v_cmp_eq_u64_e32 vcc, v[2:3], v[24:25]
	s_or_b64 s[18:19], vcc, s[18:19]
	s_andn2_b64 exec, exec, s[18:19]
	s_cbranch_execnz .LBB6_1425
; %bb.1426:                             ;   in Loop: Header=BB6_1360 Depth=1
	s_or_b64 exec, exec, s[18:19]
.LBB6_1427:                             ;   in Loop: Header=BB6_1360 Depth=1
	s_or_b64 exec, exec, s[16:17]
.LBB6_1428:                             ;   in Loop: Header=BB6_1360 Depth=1
	s_or_b64 exec, exec, s[14:15]
	global_load_dwordx2 v[28:29], v27, s[6:7] offset:40
	global_load_dwordx4 v[22:25], v27, s[6:7]
	v_readfirstlane_b32 s14, v2
	v_readfirstlane_b32 s15, v3
	s_mov_b64 s[16:17], exec
	s_waitcnt vmcnt(1)
	v_readfirstlane_b32 s18, v28
	v_readfirstlane_b32 s19, v29
	s_and_b64 s[18:19], s[14:15], s[18:19]
	s_mul_i32 s20, s19, 24
	s_mul_hi_u32 s21, s18, 24
	s_mul_i32 s22, s18, 24
	s_add_i32 s20, s21, s20
	v_mov_b32_e32 v2, s20
	s_waitcnt vmcnt(0)
	v_add_co_u32_e32 v28, vcc, s22, v22
	v_addc_co_u32_e32 v29, vcc, v23, v2, vcc
	s_and_saveexec_b64 s[20:21], s[4:5]
	s_cbranch_execz .LBB6_1430
; %bb.1429:                             ;   in Loop: Header=BB6_1360 Depth=1
	v_pk_mov_b32 v[2:3], s[16:17], s[16:17] op_sel:[0,1]
	global_store_dwordx4 v[28:29], v[2:5], off offset:8
.LBB6_1430:                             ;   in Loop: Header=BB6_1360 Depth=1
	s_or_b64 exec, exec, s[20:21]
	s_lshl_b64 s[16:17], s[18:19], 12
	v_mov_b32_e32 v3, s17
	v_add_co_u32_e32 v2, vcc, s16, v24
	v_addc_co_u32_e32 v3, vcc, v25, v3, vcc
	v_or_b32_e32 v24, 2, v6
	v_cmp_gt_u64_e64 vcc, s[10:11], 56
	s_lshl_b32 s16, s12, 2
	v_cndmask_b32_e32 v6, v24, v6, vcc
	s_add_i32 s16, s16, 28
	s_and_b32 s16, s16, 0x1e0
	v_and_b32_e32 v6, 0xffffff1f, v6
	v_or_b32_e32 v6, s16, v6
	v_readfirstlane_b32 s16, v2
	v_readfirstlane_b32 s17, v3
	s_nop 4
	global_store_dwordx4 v30, v[6:9], s[16:17]
	global_store_dwordx4 v30, v[10:13], s[16:17] offset:16
	global_store_dwordx4 v30, v[14:17], s[16:17] offset:32
	;; [unrolled: 1-line block ×3, first 2 shown]
	s_and_saveexec_b64 s[16:17], s[4:5]
	s_cbranch_execz .LBB6_1438
; %bb.1431:                             ;   in Loop: Header=BB6_1360 Depth=1
	global_load_dwordx2 v[14:15], v27, s[6:7] offset:32 glc
	global_load_dwordx2 v[6:7], v27, s[6:7] offset:40
	v_mov_b32_e32 v12, s14
	v_mov_b32_e32 v13, s15
	s_waitcnt vmcnt(0)
	v_readfirstlane_b32 s18, v6
	v_readfirstlane_b32 s19, v7
	s_and_b64 s[18:19], s[18:19], s[14:15]
	s_mul_i32 s19, s19, 24
	s_mul_hi_u32 s20, s18, 24
	s_mul_i32 s18, s18, 24
	s_add_i32 s19, s20, s19
	v_mov_b32_e32 v6, s19
	v_add_co_u32_e32 v10, vcc, s18, v22
	v_addc_co_u32_e32 v11, vcc, v23, v6, vcc
	global_store_dwordx2 v[10:11], v[14:15], off
	buffer_wbl2
	s_waitcnt vmcnt(0)
	global_atomic_cmpswap_x2 v[8:9], v27, v[12:15], s[6:7] offset:32 glc
	s_waitcnt vmcnt(0)
	v_cmp_ne_u64_e32 vcc, v[8:9], v[14:15]
	s_and_saveexec_b64 s[18:19], vcc
	s_cbranch_execz .LBB6_1434
; %bb.1432:                             ;   in Loop: Header=BB6_1360 Depth=1
	s_mov_b64 s[20:21], 0
.LBB6_1433:                             ;   Parent Loop BB6_1360 Depth=1
                                        ; =>  This Inner Loop Header: Depth=2
	s_sleep 1
	global_store_dwordx2 v[10:11], v[8:9], off
	v_mov_b32_e32 v6, s14
	v_mov_b32_e32 v7, s15
	buffer_wbl2
	s_waitcnt vmcnt(0)
	global_atomic_cmpswap_x2 v[6:7], v27, v[6:9], s[6:7] offset:32 glc
	s_waitcnt vmcnt(0)
	v_cmp_eq_u64_e32 vcc, v[6:7], v[8:9]
	s_or_b64 s[20:21], vcc, s[20:21]
	v_pk_mov_b32 v[8:9], v[6:7], v[6:7] op_sel:[0,1]
	s_andn2_b64 exec, exec, s[20:21]
	s_cbranch_execnz .LBB6_1433
.LBB6_1434:                             ;   in Loop: Header=BB6_1360 Depth=1
	s_or_b64 exec, exec, s[18:19]
	global_load_dwordx2 v[6:7], v27, s[6:7] offset:16
	s_mov_b64 s[20:21], exec
	v_mbcnt_lo_u32_b32 v8, s20, 0
	v_mbcnt_hi_u32_b32 v8, s21, v8
	v_cmp_eq_u32_e32 vcc, 0, v8
	s_and_saveexec_b64 s[18:19], vcc
	s_cbranch_execz .LBB6_1436
; %bb.1435:                             ;   in Loop: Header=BB6_1360 Depth=1
	s_bcnt1_i32_b64 s20, s[20:21]
	v_mov_b32_e32 v26, s20
	buffer_wbl2
	s_waitcnt vmcnt(0)
	global_atomic_add_x2 v[6:7], v[26:27], off offset:8
.LBB6_1436:                             ;   in Loop: Header=BB6_1360 Depth=1
	s_or_b64 exec, exec, s[18:19]
	s_waitcnt vmcnt(0)
	global_load_dwordx2 v[8:9], v[6:7], off offset:16
	s_waitcnt vmcnt(0)
	v_cmp_eq_u64_e32 vcc, 0, v[8:9]
	s_cbranch_vccnz .LBB6_1438
; %bb.1437:                             ;   in Loop: Header=BB6_1360 Depth=1
	global_load_dword v26, v[6:7], off offset:24
	s_waitcnt vmcnt(0)
	v_and_b32_e32 v6, 0xffffff, v26
	v_readfirstlane_b32 m0, v6
	buffer_wbl2
	global_store_dwordx2 v[8:9], v[26:27], off
	s_sendmsg sendmsg(MSG_INTERRUPT)
.LBB6_1438:                             ;   in Loop: Header=BB6_1360 Depth=1
	s_or_b64 exec, exec, s[16:17]
	v_add_co_u32_e32 v2, vcc, v2, v30
	v_addc_co_u32_e32 v3, vcc, 0, v3, vcc
	s_branch .LBB6_1440
.LBB6_1439:                             ;   in Loop: Header=BB6_1360 Depth=1
	s_branch .LBB6_1444
.LBB6_1440:                             ;   Parent Loop BB6_1360 Depth=1
                                        ; =>  This Inner Loop Header: Depth=2
	v_mov_b32_e32 v6, 1
	s_and_saveexec_b64 s[16:17], s[4:5]
	s_cbranch_execz .LBB6_1442
; %bb.1441:                             ;   in Loop: Header=BB6_1440 Depth=2
	global_load_dword v6, v[28:29], off offset:20 glc
	s_waitcnt vmcnt(0)
	buffer_invl2
	buffer_wbinvl1_vol
	v_and_b32_e32 v6, 1, v6
.LBB6_1442:                             ;   in Loop: Header=BB6_1440 Depth=2
	s_or_b64 exec, exec, s[16:17]
	v_readfirstlane_b32 s16, v6
	s_cmp_eq_u32 s16, 0
	s_cbranch_scc1 .LBB6_1439
; %bb.1443:                             ;   in Loop: Header=BB6_1440 Depth=2
	s_sleep 1
	s_cbranch_execnz .LBB6_1440
.LBB6_1444:                             ;   in Loop: Header=BB6_1360 Depth=1
	global_load_dwordx4 v[6:9], v[2:3], off
	s_and_saveexec_b64 s[16:17], s[4:5]
	s_cbranch_execz .LBB6_1359
; %bb.1445:                             ;   in Loop: Header=BB6_1360 Depth=1
	global_load_dwordx2 v[2:3], v27, s[6:7] offset:40
	global_load_dwordx2 v[12:13], v27, s[6:7] offset:24 glc
	global_load_dwordx2 v[14:15], v27, s[6:7]
	s_waitcnt vmcnt(3)
	v_mov_b32_e32 v9, s15
	s_waitcnt vmcnt(2)
	v_add_co_u32_e32 v11, vcc, 1, v2
	v_addc_co_u32_e32 v16, vcc, 0, v3, vcc
	v_add_co_u32_e32 v8, vcc, s14, v11
	v_addc_co_u32_e32 v9, vcc, v16, v9, vcc
	v_cmp_eq_u64_e32 vcc, 0, v[8:9]
	v_cndmask_b32_e32 v9, v9, v16, vcc
	v_cndmask_b32_e32 v8, v8, v11, vcc
	v_and_b32_e32 v3, v9, v3
	v_and_b32_e32 v2, v8, v2
	v_mul_lo_u32 v3, v3, 24
	v_mul_hi_u32 v11, v2, 24
	v_mul_lo_u32 v2, v2, 24
	v_add_u32_e32 v3, v11, v3
	s_waitcnt vmcnt(0)
	v_add_co_u32_e32 v2, vcc, v14, v2
	v_addc_co_u32_e32 v3, vcc, v15, v3, vcc
	v_mov_b32_e32 v10, v12
	global_store_dwordx2 v[2:3], v[12:13], off
	v_mov_b32_e32 v11, v13
	buffer_wbl2
	s_waitcnt vmcnt(0)
	global_atomic_cmpswap_x2 v[10:11], v27, v[8:11], s[6:7] offset:24 glc
	s_waitcnt vmcnt(0)
	v_cmp_ne_u64_e32 vcc, v[10:11], v[12:13]
	s_and_b64 exec, exec, vcc
	s_cbranch_execz .LBB6_1359
; %bb.1446:                             ;   in Loop: Header=BB6_1360 Depth=1
	s_mov_b64 s[4:5], 0
.LBB6_1447:                             ;   Parent Loop BB6_1360 Depth=1
                                        ; =>  This Inner Loop Header: Depth=2
	s_sleep 1
	global_store_dwordx2 v[2:3], v[10:11], off
	buffer_wbl2
	s_waitcnt vmcnt(0)
	global_atomic_cmpswap_x2 v[12:13], v27, v[8:11], s[6:7] offset:24 glc
	s_waitcnt vmcnt(0)
	v_cmp_eq_u64_e32 vcc, v[12:13], v[10:11]
	s_or_b64 s[4:5], vcc, s[4:5]
	v_pk_mov_b32 v[10:11], v[12:13], v[12:13] op_sel:[0,1]
	s_andn2_b64 exec, exec, s[4:5]
	s_cbranch_execnz .LBB6_1447
	s_branch .LBB6_1359
.LBB6_1448:
	s_mov_b64 s[6:7], 0
	s_branch .LBB6_1450
.LBB6_1449:
	s_mov_b64 s[6:7], -1
                                        ; implicit-def: $vgpr8_vgpr9
.LBB6_1450:
	s_and_b64 vcc, exec, s[6:7]
	s_cbranch_vccz .LBB6_1477
; %bb.1451:
	v_readfirstlane_b32 s6, v5
	v_cmp_eq_u32_e64 s[6:7], s6, v5
	v_pk_mov_b32 v[2:3], 0, 0
	s_and_saveexec_b64 s[12:13], s[6:7]
	s_cbranch_execz .LBB6_1457
; %bb.1452:
	s_waitcnt vmcnt(0)
	v_mov_b32_e32 v8, 0
	global_load_dwordx2 v[12:13], v8, s[10:11] offset:24 glc
	s_waitcnt vmcnt(0)
	buffer_invl2
	buffer_wbinvl1_vol
	global_load_dwordx2 v[2:3], v8, s[10:11] offset:40
	global_load_dwordx2 v[10:11], v8, s[10:11]
	s_waitcnt vmcnt(1)
	v_and_b32_e32 v2, v2, v12
	v_and_b32_e32 v3, v3, v13
	v_mul_lo_u32 v3, v3, 24
	v_mul_hi_u32 v9, v2, 24
	v_mul_lo_u32 v2, v2, 24
	v_add_u32_e32 v3, v9, v3
	s_waitcnt vmcnt(0)
	v_add_co_u32_e32 v2, vcc, v10, v2
	v_addc_co_u32_e32 v3, vcc, v11, v3, vcc
	global_load_dwordx2 v[10:11], v[2:3], off glc
	s_waitcnt vmcnt(0)
	global_atomic_cmpswap_x2 v[2:3], v8, v[10:13], s[10:11] offset:24 glc
	s_waitcnt vmcnt(0)
	buffer_invl2
	buffer_wbinvl1_vol
	v_cmp_ne_u64_e32 vcc, v[2:3], v[12:13]
	s_and_saveexec_b64 s[14:15], vcc
	s_cbranch_execz .LBB6_1456
; %bb.1453:
	s_mov_b64 s[16:17], 0
.LBB6_1454:                             ; =>This Inner Loop Header: Depth=1
	s_sleep 1
	global_load_dwordx2 v[10:11], v8, s[10:11] offset:40
	global_load_dwordx2 v[14:15], v8, s[10:11]
	v_pk_mov_b32 v[12:13], v[2:3], v[2:3] op_sel:[0,1]
	s_waitcnt vmcnt(1)
	v_and_b32_e32 v2, v10, v12
	s_waitcnt vmcnt(0)
	v_mad_u64_u32 v[2:3], s[18:19], v2, 24, v[14:15]
	v_and_b32_e32 v9, v11, v13
	v_mov_b32_e32 v10, v3
	v_mad_u64_u32 v[10:11], s[18:19], v9, 24, v[10:11]
	v_mov_b32_e32 v3, v10
	global_load_dwordx2 v[10:11], v[2:3], off glc
	s_waitcnt vmcnt(0)
	global_atomic_cmpswap_x2 v[2:3], v8, v[10:13], s[10:11] offset:24 glc
	s_waitcnt vmcnt(0)
	buffer_invl2
	buffer_wbinvl1_vol
	v_cmp_eq_u64_e32 vcc, v[2:3], v[12:13]
	s_or_b64 s[16:17], vcc, s[16:17]
	s_andn2_b64 exec, exec, s[16:17]
	s_cbranch_execnz .LBB6_1454
; %bb.1455:
	s_or_b64 exec, exec, s[16:17]
.LBB6_1456:
	s_or_b64 exec, exec, s[14:15]
.LBB6_1457:
	s_or_b64 exec, exec, s[12:13]
	s_waitcnt vmcnt(0)
	v_mov_b32_e32 v8, 0
	global_load_dwordx2 v[14:15], v8, s[10:11] offset:40
	global_load_dwordx4 v[10:13], v8, s[10:11]
	v_readfirstlane_b32 s12, v2
	v_readfirstlane_b32 s13, v3
	s_mov_b64 s[14:15], exec
	s_waitcnt vmcnt(1)
	v_readfirstlane_b32 s16, v14
	v_readfirstlane_b32 s17, v15
	s_and_b64 s[16:17], s[12:13], s[16:17]
	s_mul_i32 s18, s17, 24
	s_mul_hi_u32 s19, s16, 24
	s_mul_i32 s20, s16, 24
	s_add_i32 s18, s19, s18
	v_mov_b32_e32 v3, s18
	s_waitcnt vmcnt(0)
	v_add_co_u32_e32 v2, vcc, s20, v10
	v_addc_co_u32_e32 v3, vcc, v11, v3, vcc
	s_and_saveexec_b64 s[18:19], s[6:7]
	s_cbranch_execz .LBB6_1459
; %bb.1458:
	v_pk_mov_b32 v[14:15], s[14:15], s[14:15] op_sel:[0,1]
	v_mov_b32_e32 v16, 2
	v_mov_b32_e32 v17, 1
	global_store_dwordx4 v[2:3], v[14:17], off offset:8
.LBB6_1459:
	s_or_b64 exec, exec, s[18:19]
	s_lshl_b64 s[14:15], s[16:17], 12
	v_mov_b32_e32 v9, s15
	v_add_co_u32_e32 v14, vcc, s14, v12
	v_addc_co_u32_e32 v15, vcc, v13, v9, vcc
	s_movk_i32 s14, 0xff1f
	s_mov_b32 s16, 0
	v_and_or_b32 v6, v6, s14, 32
	v_mov_b32_e32 v9, v8
	v_readfirstlane_b32 s14, v14
	v_readfirstlane_b32 s15, v15
	s_mov_b32 s17, s16
	v_add_co_u32_e32 v12, vcc, v14, v39
	s_mov_b32 s18, s16
	s_mov_b32 s19, s16
	s_nop 0
	global_store_dwordx4 v39, v[6:9], s[14:15]
	v_addc_co_u32_e32 v13, vcc, 0, v15, vcc
	v_pk_mov_b32 v[6:7], s[16:17], s[16:17] op_sel:[0,1]
	v_pk_mov_b32 v[8:9], s[18:19], s[18:19] op_sel:[0,1]
	global_store_dwordx4 v39, v[6:9], s[14:15] offset:16
	global_store_dwordx4 v39, v[6:9], s[14:15] offset:32
	;; [unrolled: 1-line block ×3, first 2 shown]
	s_and_saveexec_b64 s[14:15], s[6:7]
	s_cbranch_execz .LBB6_1467
; %bb.1460:
	v_mov_b32_e32 v14, 0
	global_load_dwordx2 v[18:19], v14, s[10:11] offset:32 glc
	global_load_dwordx2 v[6:7], v14, s[10:11] offset:40
	v_mov_b32_e32 v16, s12
	v_mov_b32_e32 v17, s13
	s_waitcnt vmcnt(0)
	v_readfirstlane_b32 s16, v6
	v_readfirstlane_b32 s17, v7
	s_and_b64 s[16:17], s[16:17], s[12:13]
	s_mul_i32 s17, s17, 24
	s_mul_hi_u32 s18, s16, 24
	s_mul_i32 s16, s16, 24
	s_add_i32 s17, s18, s17
	v_mov_b32_e32 v6, s17
	v_add_co_u32_e32 v10, vcc, s16, v10
	v_addc_co_u32_e32 v11, vcc, v11, v6, vcc
	global_store_dwordx2 v[10:11], v[18:19], off
	buffer_wbl2
	s_waitcnt vmcnt(0)
	global_atomic_cmpswap_x2 v[8:9], v14, v[16:19], s[10:11] offset:32 glc
	s_waitcnt vmcnt(0)
	v_cmp_ne_u64_e32 vcc, v[8:9], v[18:19]
	s_and_saveexec_b64 s[16:17], vcc
	s_cbranch_execz .LBB6_1463
; %bb.1461:
	s_mov_b64 s[18:19], 0
.LBB6_1462:                             ; =>This Inner Loop Header: Depth=1
	s_sleep 1
	global_store_dwordx2 v[10:11], v[8:9], off
	v_mov_b32_e32 v6, s12
	v_mov_b32_e32 v7, s13
	buffer_wbl2
	s_waitcnt vmcnt(0)
	global_atomic_cmpswap_x2 v[6:7], v14, v[6:9], s[10:11] offset:32 glc
	s_waitcnt vmcnt(0)
	v_cmp_eq_u64_e32 vcc, v[6:7], v[8:9]
	s_or_b64 s[18:19], vcc, s[18:19]
	v_pk_mov_b32 v[8:9], v[6:7], v[6:7] op_sel:[0,1]
	s_andn2_b64 exec, exec, s[18:19]
	s_cbranch_execnz .LBB6_1462
.LBB6_1463:
	s_or_b64 exec, exec, s[16:17]
	v_mov_b32_e32 v9, 0
	global_load_dwordx2 v[6:7], v9, s[10:11] offset:16
	s_mov_b64 s[16:17], exec
	v_mbcnt_lo_u32_b32 v8, s16, 0
	v_mbcnt_hi_u32_b32 v8, s17, v8
	v_cmp_eq_u32_e32 vcc, 0, v8
	s_and_saveexec_b64 s[18:19], vcc
	s_cbranch_execz .LBB6_1465
; %bb.1464:
	s_bcnt1_i32_b64 s16, s[16:17]
	v_mov_b32_e32 v8, s16
	buffer_wbl2
	s_waitcnt vmcnt(0)
	global_atomic_add_x2 v[6:7], v[8:9], off offset:8
.LBB6_1465:
	s_or_b64 exec, exec, s[18:19]
	s_waitcnt vmcnt(0)
	global_load_dwordx2 v[8:9], v[6:7], off offset:16
	s_waitcnt vmcnt(0)
	v_cmp_eq_u64_e32 vcc, 0, v[8:9]
	s_cbranch_vccnz .LBB6_1467
; %bb.1466:
	global_load_dword v6, v[6:7], off offset:24
	v_mov_b32_e32 v7, 0
	buffer_wbl2
	s_waitcnt vmcnt(0)
	global_store_dwordx2 v[8:9], v[6:7], off
	v_and_b32_e32 v6, 0xffffff, v6
	v_readfirstlane_b32 m0, v6
	s_sendmsg sendmsg(MSG_INTERRUPT)
.LBB6_1467:
	s_or_b64 exec, exec, s[14:15]
	s_branch .LBB6_1469
.LBB6_1468:
	s_branch .LBB6_1473
.LBB6_1469:                             ; =>This Inner Loop Header: Depth=1
	v_mov_b32_e32 v6, 1
	s_and_saveexec_b64 s[14:15], s[6:7]
	s_cbranch_execz .LBB6_1471
; %bb.1470:                             ;   in Loop: Header=BB6_1469 Depth=1
	global_load_dword v6, v[2:3], off offset:20 glc
	s_waitcnt vmcnt(0)
	buffer_invl2
	buffer_wbinvl1_vol
	v_and_b32_e32 v6, 1, v6
.LBB6_1471:                             ;   in Loop: Header=BB6_1469 Depth=1
	s_or_b64 exec, exec, s[14:15]
	v_readfirstlane_b32 s14, v6
	s_cmp_eq_u32 s14, 0
	s_cbranch_scc1 .LBB6_1468
; %bb.1472:                             ;   in Loop: Header=BB6_1469 Depth=1
	s_sleep 1
	s_cbranch_execnz .LBB6_1469
.LBB6_1473:
	global_load_dwordx2 v[8:9], v[12:13], off
	s_and_saveexec_b64 s[14:15], s[6:7]
	s_cbranch_execz .LBB6_1476
; %bb.1474:
	v_mov_b32_e32 v6, 0
	global_load_dwordx2 v[2:3], v6, s[10:11] offset:40
	global_load_dwordx2 v[14:15], v6, s[10:11] offset:24 glc
	global_load_dwordx2 v[16:17], v6, s[10:11]
	v_mov_b32_e32 v7, s13
	s_mov_b64 s[6:7], 0
	s_waitcnt vmcnt(2)
	v_add_co_u32_e32 v13, vcc, 1, v2
	v_addc_co_u32_e32 v18, vcc, 0, v3, vcc
	v_add_co_u32_e32 v10, vcc, s12, v13
	v_addc_co_u32_e32 v11, vcc, v18, v7, vcc
	v_cmp_eq_u64_e32 vcc, 0, v[10:11]
	v_cndmask_b32_e32 v11, v11, v18, vcc
	v_cndmask_b32_e32 v10, v10, v13, vcc
	v_and_b32_e32 v3, v11, v3
	v_and_b32_e32 v2, v10, v2
	v_mul_lo_u32 v3, v3, 24
	v_mul_hi_u32 v7, v2, 24
	v_mul_lo_u32 v2, v2, 24
	v_add_u32_e32 v3, v7, v3
	s_waitcnt vmcnt(0)
	v_add_co_u32_e32 v2, vcc, v16, v2
	v_addc_co_u32_e32 v3, vcc, v17, v3, vcc
	v_mov_b32_e32 v12, v14
	global_store_dwordx2 v[2:3], v[14:15], off
	v_mov_b32_e32 v13, v15
	buffer_wbl2
	s_waitcnt vmcnt(0)
	global_atomic_cmpswap_x2 v[12:13], v6, v[10:13], s[10:11] offset:24 glc
	s_waitcnt vmcnt(0)
	v_cmp_ne_u64_e32 vcc, v[12:13], v[14:15]
	s_and_b64 exec, exec, vcc
	s_cbranch_execz .LBB6_1476
.LBB6_1475:                             ; =>This Inner Loop Header: Depth=1
	s_sleep 1
	global_store_dwordx2 v[2:3], v[12:13], off
	buffer_wbl2
	s_waitcnt vmcnt(0)
	global_atomic_cmpswap_x2 v[14:15], v6, v[10:13], s[10:11] offset:24 glc
	s_waitcnt vmcnt(0)
	v_cmp_eq_u64_e32 vcc, v[14:15], v[12:13]
	s_or_b64 s[6:7], vcc, s[6:7]
	v_pk_mov_b32 v[12:13], v[14:15], v[14:15] op_sel:[0,1]
	s_andn2_b64 exec, exec, s[6:7]
	s_cbranch_execnz .LBB6_1475
.LBB6_1476:
	s_or_b64 exec, exec, s[14:15]
.LBB6_1477:
	v_readfirstlane_b32 s6, v5
	v_cmp_eq_u32_e64 s[6:7], s6, v5
	v_pk_mov_b32 v[2:3], 0, 0
	s_and_saveexec_b64 s[12:13], s[6:7]
	s_cbranch_execz .LBB6_1483
; %bb.1478:
	s_waitcnt vmcnt(0)
	v_mov_b32_e32 v6, 0
	global_load_dwordx2 v[12:13], v6, s[10:11] offset:24 glc
	s_waitcnt vmcnt(0)
	buffer_invl2
	buffer_wbinvl1_vol
	global_load_dwordx2 v[2:3], v6, s[10:11] offset:40
	global_load_dwordx2 v[10:11], v6, s[10:11]
	s_waitcnt vmcnt(1)
	v_and_b32_e32 v2, v2, v12
	v_and_b32_e32 v3, v3, v13
	v_mul_lo_u32 v3, v3, 24
	v_mul_hi_u32 v7, v2, 24
	v_mul_lo_u32 v2, v2, 24
	v_add_u32_e32 v3, v7, v3
	s_waitcnt vmcnt(0)
	v_add_co_u32_e32 v2, vcc, v10, v2
	v_addc_co_u32_e32 v3, vcc, v11, v3, vcc
	global_load_dwordx2 v[10:11], v[2:3], off glc
	s_waitcnt vmcnt(0)
	global_atomic_cmpswap_x2 v[2:3], v6, v[10:13], s[10:11] offset:24 glc
	s_waitcnt vmcnt(0)
	buffer_invl2
	buffer_wbinvl1_vol
	v_cmp_ne_u64_e32 vcc, v[2:3], v[12:13]
	s_and_saveexec_b64 s[14:15], vcc
	s_cbranch_execz .LBB6_1482
; %bb.1479:
	s_mov_b64 s[16:17], 0
.LBB6_1480:                             ; =>This Inner Loop Header: Depth=1
	s_sleep 1
	global_load_dwordx2 v[10:11], v6, s[10:11] offset:40
	global_load_dwordx2 v[14:15], v6, s[10:11]
	v_pk_mov_b32 v[12:13], v[2:3], v[2:3] op_sel:[0,1]
	s_waitcnt vmcnt(1)
	v_and_b32_e32 v2, v10, v12
	s_waitcnt vmcnt(0)
	v_mad_u64_u32 v[2:3], s[18:19], v2, 24, v[14:15]
	v_and_b32_e32 v7, v11, v13
	v_mov_b32_e32 v10, v3
	v_mad_u64_u32 v[10:11], s[18:19], v7, 24, v[10:11]
	v_mov_b32_e32 v3, v10
	global_load_dwordx2 v[10:11], v[2:3], off glc
	s_waitcnt vmcnt(0)
	global_atomic_cmpswap_x2 v[2:3], v6, v[10:13], s[10:11] offset:24 glc
	s_waitcnt vmcnt(0)
	buffer_invl2
	buffer_wbinvl1_vol
	v_cmp_eq_u64_e32 vcc, v[2:3], v[12:13]
	s_or_b64 s[16:17], vcc, s[16:17]
	s_andn2_b64 exec, exec, s[16:17]
	s_cbranch_execnz .LBB6_1480
; %bb.1481:
	s_or_b64 exec, exec, s[16:17]
.LBB6_1482:
	s_or_b64 exec, exec, s[14:15]
.LBB6_1483:
	s_or_b64 exec, exec, s[12:13]
	s_waitcnt vmcnt(0)
	v_mov_b32_e32 v11, 0
	global_load_dwordx2 v[6:7], v11, s[10:11] offset:40
	global_load_dwordx4 v[12:15], v11, s[10:11]
	v_readfirstlane_b32 s12, v2
	v_readfirstlane_b32 s13, v3
	s_mov_b64 s[14:15], exec
	s_waitcnt vmcnt(1)
	v_readfirstlane_b32 s16, v6
	v_readfirstlane_b32 s17, v7
	s_and_b64 s[16:17], s[12:13], s[16:17]
	s_mul_i32 s18, s17, 24
	s_mul_hi_u32 s19, s16, 24
	s_mul_i32 s20, s16, 24
	s_add_i32 s18, s19, s18
	v_mov_b32_e32 v3, s18
	s_waitcnt vmcnt(0)
	v_add_co_u32_e32 v2, vcc, s20, v12
	v_addc_co_u32_e32 v3, vcc, v13, v3, vcc
	s_and_saveexec_b64 s[18:19], s[6:7]
	s_cbranch_execz .LBB6_1485
; %bb.1484:
	v_pk_mov_b32 v[16:17], s[14:15], s[14:15] op_sel:[0,1]
	v_mov_b32_e32 v18, 2
	v_mov_b32_e32 v19, 1
	global_store_dwordx4 v[2:3], v[16:19], off offset:8
.LBB6_1485:
	s_or_b64 exec, exec, s[18:19]
	s_lshl_b64 s[14:15], s[16:17], 12
	v_mov_b32_e32 v7, s15
	v_add_co_u32_e32 v6, vcc, s14, v14
	v_addc_co_u32_e32 v7, vcc, v15, v7, vcc
	s_mov_b32 s16, 0
	s_movk_i32 s14, 0xff1f
	v_and_or_b32 v8, v8, s14, 32
	v_add_co_u32_e32 v14, vcc, v6, v39
	v_mov_b32_e32 v10, v48
	v_readfirstlane_b32 s14, v6
	v_readfirstlane_b32 s15, v7
	s_mov_b32 s17, s16
	v_addc_co_u32_e32 v15, vcc, 0, v7, vcc
	s_mov_b32 s18, s16
	s_mov_b32 s19, s16
	s_nop 0
	global_store_dwordx4 v39, v[8:11], s[14:15]
	v_pk_mov_b32 v[6:7], s[16:17], s[16:17] op_sel:[0,1]
	v_pk_mov_b32 v[8:9], s[18:19], s[18:19] op_sel:[0,1]
	global_store_dwordx4 v39, v[6:9], s[14:15] offset:16
	global_store_dwordx4 v39, v[6:9], s[14:15] offset:32
	;; [unrolled: 1-line block ×3, first 2 shown]
	s_and_saveexec_b64 s[14:15], s[6:7]
	s_cbranch_execz .LBB6_1493
; %bb.1486:
	v_mov_b32_e32 v16, 0
	global_load_dwordx2 v[20:21], v16, s[10:11] offset:32 glc
	global_load_dwordx2 v[6:7], v16, s[10:11] offset:40
	v_mov_b32_e32 v18, s12
	v_mov_b32_e32 v19, s13
	s_waitcnt vmcnt(0)
	v_readfirstlane_b32 s16, v6
	v_readfirstlane_b32 s17, v7
	s_and_b64 s[16:17], s[16:17], s[12:13]
	s_mul_i32 s17, s17, 24
	s_mul_hi_u32 s18, s16, 24
	s_mul_i32 s16, s16, 24
	s_add_i32 s17, s18, s17
	v_mov_b32_e32 v6, s17
	v_add_co_u32_e32 v10, vcc, s16, v12
	v_addc_co_u32_e32 v11, vcc, v13, v6, vcc
	global_store_dwordx2 v[10:11], v[20:21], off
	buffer_wbl2
	s_waitcnt vmcnt(0)
	global_atomic_cmpswap_x2 v[8:9], v16, v[18:21], s[10:11] offset:32 glc
	s_waitcnt vmcnt(0)
	v_cmp_ne_u64_e32 vcc, v[8:9], v[20:21]
	s_and_saveexec_b64 s[16:17], vcc
	s_cbranch_execz .LBB6_1489
; %bb.1487:
	s_mov_b64 s[18:19], 0
.LBB6_1488:                             ; =>This Inner Loop Header: Depth=1
	s_sleep 1
	global_store_dwordx2 v[10:11], v[8:9], off
	v_mov_b32_e32 v6, s12
	v_mov_b32_e32 v7, s13
	buffer_wbl2
	s_waitcnt vmcnt(0)
	global_atomic_cmpswap_x2 v[6:7], v16, v[6:9], s[10:11] offset:32 glc
	s_waitcnt vmcnt(0)
	v_cmp_eq_u64_e32 vcc, v[6:7], v[8:9]
	s_or_b64 s[18:19], vcc, s[18:19]
	v_pk_mov_b32 v[8:9], v[6:7], v[6:7] op_sel:[0,1]
	s_andn2_b64 exec, exec, s[18:19]
	s_cbranch_execnz .LBB6_1488
.LBB6_1489:
	s_or_b64 exec, exec, s[16:17]
	v_mov_b32_e32 v9, 0
	global_load_dwordx2 v[6:7], v9, s[10:11] offset:16
	s_mov_b64 s[16:17], exec
	v_mbcnt_lo_u32_b32 v8, s16, 0
	v_mbcnt_hi_u32_b32 v8, s17, v8
	v_cmp_eq_u32_e32 vcc, 0, v8
	s_and_saveexec_b64 s[18:19], vcc
	s_cbranch_execz .LBB6_1491
; %bb.1490:
	s_bcnt1_i32_b64 s16, s[16:17]
	v_mov_b32_e32 v8, s16
	buffer_wbl2
	s_waitcnt vmcnt(0)
	global_atomic_add_x2 v[6:7], v[8:9], off offset:8
.LBB6_1491:
	s_or_b64 exec, exec, s[18:19]
	s_waitcnt vmcnt(0)
	global_load_dwordx2 v[8:9], v[6:7], off offset:16
	s_waitcnt vmcnt(0)
	v_cmp_eq_u64_e32 vcc, 0, v[8:9]
	s_cbranch_vccnz .LBB6_1493
; %bb.1492:
	global_load_dword v6, v[6:7], off offset:24
	v_mov_b32_e32 v7, 0
	buffer_wbl2
	s_waitcnt vmcnt(0)
	global_store_dwordx2 v[8:9], v[6:7], off
	v_and_b32_e32 v6, 0xffffff, v6
	v_readfirstlane_b32 m0, v6
	s_sendmsg sendmsg(MSG_INTERRUPT)
.LBB6_1493:
	s_or_b64 exec, exec, s[14:15]
	s_branch .LBB6_1495
.LBB6_1494:
	s_branch .LBB6_1499
.LBB6_1495:                             ; =>This Inner Loop Header: Depth=1
	v_mov_b32_e32 v6, 1
	s_and_saveexec_b64 s[14:15], s[6:7]
	s_cbranch_execz .LBB6_1497
; %bb.1496:                             ;   in Loop: Header=BB6_1495 Depth=1
	global_load_dword v6, v[2:3], off offset:20 glc
	s_waitcnt vmcnt(0)
	buffer_invl2
	buffer_wbinvl1_vol
	v_and_b32_e32 v6, 1, v6
.LBB6_1497:                             ;   in Loop: Header=BB6_1495 Depth=1
	s_or_b64 exec, exec, s[14:15]
	v_readfirstlane_b32 s14, v6
	s_cmp_eq_u32 s14, 0
	s_cbranch_scc1 .LBB6_1494
; %bb.1498:                             ;   in Loop: Header=BB6_1495 Depth=1
	s_sleep 1
	s_cbranch_execnz .LBB6_1495
.LBB6_1499:
	global_load_dwordx2 v[2:3], v[14:15], off
	s_and_saveexec_b64 s[14:15], s[6:7]
	s_cbranch_execz .LBB6_1502
; %bb.1500:
	v_mov_b32_e32 v12, 0
	global_load_dwordx2 v[10:11], v12, s[10:11] offset:40
	global_load_dwordx2 v[14:15], v12, s[10:11] offset:24 glc
	global_load_dwordx2 v[16:17], v12, s[10:11]
	v_mov_b32_e32 v7, s13
	s_mov_b64 s[6:7], 0
	s_waitcnt vmcnt(2)
	v_add_co_u32_e32 v9, vcc, 1, v10
	v_addc_co_u32_e32 v13, vcc, 0, v11, vcc
	v_add_co_u32_e32 v6, vcc, s12, v9
	v_addc_co_u32_e32 v7, vcc, v13, v7, vcc
	v_cmp_eq_u64_e32 vcc, 0, v[6:7]
	v_cndmask_b32_e32 v7, v7, v13, vcc
	v_cndmask_b32_e32 v6, v6, v9, vcc
	v_and_b32_e32 v9, v7, v11
	v_and_b32_e32 v10, v6, v10
	v_mul_lo_u32 v9, v9, 24
	v_mul_hi_u32 v11, v10, 24
	v_mul_lo_u32 v10, v10, 24
	v_add_u32_e32 v9, v11, v9
	s_waitcnt vmcnt(0)
	v_add_co_u32_e32 v10, vcc, v16, v10
	v_addc_co_u32_e32 v11, vcc, v17, v9, vcc
	v_mov_b32_e32 v8, v14
	global_store_dwordx2 v[10:11], v[14:15], off
	v_mov_b32_e32 v9, v15
	buffer_wbl2
	s_waitcnt vmcnt(0)
	global_atomic_cmpswap_x2 v[8:9], v12, v[6:9], s[10:11] offset:24 glc
	s_waitcnt vmcnt(0)
	v_cmp_ne_u64_e32 vcc, v[8:9], v[14:15]
	s_and_b64 exec, exec, vcc
	s_cbranch_execz .LBB6_1502
.LBB6_1501:                             ; =>This Inner Loop Header: Depth=1
	s_sleep 1
	global_store_dwordx2 v[10:11], v[8:9], off
	buffer_wbl2
	s_waitcnt vmcnt(0)
	global_atomic_cmpswap_x2 v[14:15], v12, v[6:9], s[10:11] offset:24 glc
	s_waitcnt vmcnt(0)
	v_cmp_eq_u64_e32 vcc, v[14:15], v[8:9]
	s_or_b64 s[6:7], vcc, s[6:7]
	v_pk_mov_b32 v[8:9], v[14:15], v[14:15] op_sel:[0,1]
	s_andn2_b64 exec, exec, s[6:7]
	s_cbranch_execnz .LBB6_1501
.LBB6_1502:
	s_or_b64 exec, exec, s[14:15]
	v_readfirstlane_b32 s6, v5
	v_cmp_eq_u32_e64 s[6:7], s6, v5
	v_pk_mov_b32 v[10:11], 0, 0
	s_and_saveexec_b64 s[12:13], s[6:7]
	s_cbranch_execz .LBB6_1508
; %bb.1503:
	v_mov_b32_e32 v5, 0
	global_load_dwordx2 v[8:9], v5, s[10:11] offset:24 glc
	s_waitcnt vmcnt(0)
	buffer_invl2
	buffer_wbinvl1_vol
	global_load_dwordx2 v[6:7], v5, s[10:11] offset:40
	global_load_dwordx2 v[10:11], v5, s[10:11]
	s_waitcnt vmcnt(1)
	v_and_b32_e32 v6, v6, v8
	v_and_b32_e32 v7, v7, v9
	v_mul_lo_u32 v7, v7, 24
	v_mul_hi_u32 v12, v6, 24
	v_mul_lo_u32 v6, v6, 24
	v_add_u32_e32 v7, v12, v7
	s_waitcnt vmcnt(0)
	v_add_co_u32_e32 v6, vcc, v10, v6
	v_addc_co_u32_e32 v7, vcc, v11, v7, vcc
	global_load_dwordx2 v[6:7], v[6:7], off glc
	s_waitcnt vmcnt(0)
	global_atomic_cmpswap_x2 v[10:11], v5, v[6:9], s[10:11] offset:24 glc
	s_waitcnt vmcnt(0)
	buffer_invl2
	buffer_wbinvl1_vol
	v_cmp_ne_u64_e32 vcc, v[10:11], v[8:9]
	s_and_saveexec_b64 s[14:15], vcc
	s_cbranch_execz .LBB6_1507
; %bb.1504:
	s_mov_b64 s[16:17], 0
.LBB6_1505:                             ; =>This Inner Loop Header: Depth=1
	s_sleep 1
	global_load_dwordx2 v[6:7], v5, s[10:11] offset:40
	global_load_dwordx2 v[12:13], v5, s[10:11]
	v_pk_mov_b32 v[8:9], v[10:11], v[10:11] op_sel:[0,1]
	s_waitcnt vmcnt(1)
	v_and_b32_e32 v6, v6, v8
	v_and_b32_e32 v11, v7, v9
	s_waitcnt vmcnt(0)
	v_mad_u64_u32 v[6:7], s[18:19], v6, 24, v[12:13]
	v_mov_b32_e32 v10, v7
	v_mad_u64_u32 v[10:11], s[18:19], v11, 24, v[10:11]
	v_mov_b32_e32 v7, v10
	global_load_dwordx2 v[6:7], v[6:7], off glc
	s_waitcnt vmcnt(0)
	global_atomic_cmpswap_x2 v[10:11], v5, v[6:9], s[10:11] offset:24 glc
	s_waitcnt vmcnt(0)
	buffer_invl2
	buffer_wbinvl1_vol
	v_cmp_eq_u64_e32 vcc, v[10:11], v[8:9]
	s_or_b64 s[16:17], vcc, s[16:17]
	s_andn2_b64 exec, exec, s[16:17]
	s_cbranch_execnz .LBB6_1505
; %bb.1506:
	s_or_b64 exec, exec, s[16:17]
.LBB6_1507:
	s_or_b64 exec, exec, s[14:15]
.LBB6_1508:
	s_or_b64 exec, exec, s[12:13]
	v_mov_b32_e32 v5, 0
	global_load_dwordx2 v[12:13], v5, s[10:11] offset:40
	global_load_dwordx4 v[6:9], v5, s[10:11]
	v_readfirstlane_b32 s12, v10
	v_readfirstlane_b32 s13, v11
	s_mov_b64 s[14:15], exec
	s_waitcnt vmcnt(1)
	v_readfirstlane_b32 s16, v12
	v_readfirstlane_b32 s17, v13
	s_and_b64 s[16:17], s[12:13], s[16:17]
	s_mul_i32 s18, s17, 24
	s_mul_hi_u32 s19, s16, 24
	s_mul_i32 s20, s16, 24
	s_add_i32 s18, s19, s18
	v_mov_b32_e32 v11, s18
	s_waitcnt vmcnt(0)
	v_add_co_u32_e32 v10, vcc, s20, v6
	v_addc_co_u32_e32 v11, vcc, v7, v11, vcc
	s_and_saveexec_b64 s[18:19], s[6:7]
	s_cbranch_execz .LBB6_1510
; %bb.1509:
	v_pk_mov_b32 v[12:13], s[14:15], s[14:15] op_sel:[0,1]
	v_mov_b32_e32 v14, 2
	v_mov_b32_e32 v15, 1
	global_store_dwordx4 v[10:11], v[12:15], off offset:8
.LBB6_1510:
	s_or_b64 exec, exec, s[18:19]
	s_lshl_b64 s[14:15], s[16:17], 12
	v_mov_b32_e32 v12, s15
	v_add_co_u32_e32 v8, vcc, s14, v8
	v_addc_co_u32_e32 v9, vcc, v9, v12, vcc
	s_movk_i32 s14, 0xff1d
	s_mov_b32 s16, 0
	v_and_or_b32 v2, v2, s14, 34
	v_readfirstlane_b32 s14, v8
	v_readfirstlane_b32 s15, v9
	s_mov_b32 s17, s16
	s_mov_b32 s18, s16
	;; [unrolled: 1-line block ×3, first 2 shown]
	s_nop 1
	global_store_dwordx4 v39, v[2:5], s[14:15]
	s_nop 0
	v_pk_mov_b32 v[2:3], s[16:17], s[16:17] op_sel:[0,1]
	v_pk_mov_b32 v[4:5], s[18:19], s[18:19] op_sel:[0,1]
	global_store_dwordx4 v39, v[2:5], s[14:15] offset:16
	global_store_dwordx4 v39, v[2:5], s[14:15] offset:32
	;; [unrolled: 1-line block ×3, first 2 shown]
	s_and_saveexec_b64 s[14:15], s[6:7]
	s_cbranch_execz .LBB6_1518
; %bb.1511:
	v_mov_b32_e32 v8, 0
	global_load_dwordx2 v[14:15], v8, s[10:11] offset:32 glc
	global_load_dwordx2 v[2:3], v8, s[10:11] offset:40
	v_mov_b32_e32 v12, s12
	v_mov_b32_e32 v13, s13
	s_waitcnt vmcnt(0)
	v_readfirstlane_b32 s16, v2
	v_readfirstlane_b32 s17, v3
	s_and_b64 s[16:17], s[16:17], s[12:13]
	s_mul_i32 s17, s17, 24
	s_mul_hi_u32 s18, s16, 24
	s_mul_i32 s16, s16, 24
	s_add_i32 s17, s18, s17
	v_mov_b32_e32 v2, s17
	v_add_co_u32_e32 v6, vcc, s16, v6
	v_addc_co_u32_e32 v7, vcc, v7, v2, vcc
	global_store_dwordx2 v[6:7], v[14:15], off
	buffer_wbl2
	s_waitcnt vmcnt(0)
	global_atomic_cmpswap_x2 v[4:5], v8, v[12:15], s[10:11] offset:32 glc
	s_waitcnt vmcnt(0)
	v_cmp_ne_u64_e32 vcc, v[4:5], v[14:15]
	s_and_saveexec_b64 s[16:17], vcc
	s_cbranch_execz .LBB6_1514
; %bb.1512:
	s_mov_b64 s[18:19], 0
.LBB6_1513:                             ; =>This Inner Loop Header: Depth=1
	s_sleep 1
	global_store_dwordx2 v[6:7], v[4:5], off
	v_mov_b32_e32 v2, s12
	v_mov_b32_e32 v3, s13
	buffer_wbl2
	s_waitcnt vmcnt(0)
	global_atomic_cmpswap_x2 v[2:3], v8, v[2:5], s[10:11] offset:32 glc
	s_waitcnt vmcnt(0)
	v_cmp_eq_u64_e32 vcc, v[2:3], v[4:5]
	s_or_b64 s[18:19], vcc, s[18:19]
	v_pk_mov_b32 v[4:5], v[2:3], v[2:3] op_sel:[0,1]
	s_andn2_b64 exec, exec, s[18:19]
	s_cbranch_execnz .LBB6_1513
.LBB6_1514:
	s_or_b64 exec, exec, s[16:17]
	v_mov_b32_e32 v5, 0
	global_load_dwordx2 v[2:3], v5, s[10:11] offset:16
	s_mov_b64 s[16:17], exec
	v_mbcnt_lo_u32_b32 v4, s16, 0
	v_mbcnt_hi_u32_b32 v4, s17, v4
	v_cmp_eq_u32_e32 vcc, 0, v4
	s_and_saveexec_b64 s[18:19], vcc
	s_cbranch_execz .LBB6_1516
; %bb.1515:
	s_bcnt1_i32_b64 s16, s[16:17]
	v_mov_b32_e32 v4, s16
	buffer_wbl2
	s_waitcnt vmcnt(0)
	global_atomic_add_x2 v[2:3], v[4:5], off offset:8
.LBB6_1516:
	s_or_b64 exec, exec, s[18:19]
	s_waitcnt vmcnt(0)
	global_load_dwordx2 v[4:5], v[2:3], off offset:16
	s_waitcnt vmcnt(0)
	v_cmp_eq_u64_e32 vcc, 0, v[4:5]
	s_cbranch_vccnz .LBB6_1518
; %bb.1517:
	global_load_dword v2, v[2:3], off offset:24
	v_mov_b32_e32 v3, 0
	buffer_wbl2
	s_waitcnt vmcnt(0)
	global_store_dwordx2 v[4:5], v[2:3], off
	v_and_b32_e32 v2, 0xffffff, v2
	v_readfirstlane_b32 m0, v2
	s_sendmsg sendmsg(MSG_INTERRUPT)
.LBB6_1518:
	s_or_b64 exec, exec, s[14:15]
	s_branch .LBB6_1520
.LBB6_1519:
	s_branch .LBB6_1524
.LBB6_1520:                             ; =>This Inner Loop Header: Depth=1
	v_mov_b32_e32 v2, 1
	s_and_saveexec_b64 s[14:15], s[6:7]
	s_cbranch_execz .LBB6_1522
; %bb.1521:                             ;   in Loop: Header=BB6_1520 Depth=1
	global_load_dword v2, v[10:11], off offset:20 glc
	s_waitcnt vmcnt(0)
	buffer_invl2
	buffer_wbinvl1_vol
	v_and_b32_e32 v2, 1, v2
.LBB6_1522:                             ;   in Loop: Header=BB6_1520 Depth=1
	s_or_b64 exec, exec, s[14:15]
	v_readfirstlane_b32 s14, v2
	s_cmp_eq_u32 s14, 0
	s_cbranch_scc1 .LBB6_1519
; %bb.1523:                             ;   in Loop: Header=BB6_1520 Depth=1
	s_sleep 1
	s_cbranch_execnz .LBB6_1520
.LBB6_1524:
	s_and_b64 exec, exec, s[6:7]
	s_cbranch_execz .LBB6_1527
; %bb.1525:
	v_mov_b32_e32 v8, 0
	global_load_dwordx2 v[6:7], v8, s[10:11] offset:40
	global_load_dwordx2 v[10:11], v8, s[10:11] offset:24 glc
	global_load_dwordx2 v[12:13], v8, s[10:11]
	v_mov_b32_e32 v3, s13
	s_mov_b64 s[6:7], 0
	s_waitcnt vmcnt(2)
	v_add_co_u32_e32 v5, vcc, 1, v6
	v_addc_co_u32_e32 v9, vcc, 0, v7, vcc
	v_add_co_u32_e32 v2, vcc, s12, v5
	v_addc_co_u32_e32 v3, vcc, v9, v3, vcc
	v_cmp_eq_u64_e32 vcc, 0, v[2:3]
	v_cndmask_b32_e32 v3, v3, v9, vcc
	v_cndmask_b32_e32 v2, v2, v5, vcc
	v_and_b32_e32 v5, v3, v7
	v_and_b32_e32 v6, v2, v6
	v_mul_lo_u32 v5, v5, 24
	v_mul_hi_u32 v7, v6, 24
	v_mul_lo_u32 v6, v6, 24
	v_add_u32_e32 v5, v7, v5
	s_waitcnt vmcnt(0)
	v_add_co_u32_e32 v6, vcc, v12, v6
	v_addc_co_u32_e32 v7, vcc, v13, v5, vcc
	v_mov_b32_e32 v4, v10
	global_store_dwordx2 v[6:7], v[10:11], off
	v_mov_b32_e32 v5, v11
	buffer_wbl2
	s_waitcnt vmcnt(0)
	global_atomic_cmpswap_x2 v[4:5], v8, v[2:5], s[10:11] offset:24 glc
	s_waitcnt vmcnt(0)
	v_cmp_ne_u64_e32 vcc, v[4:5], v[10:11]
	s_and_b64 exec, exec, vcc
	s_cbranch_execz .LBB6_1527
.LBB6_1526:                             ; =>This Inner Loop Header: Depth=1
	s_sleep 1
	global_store_dwordx2 v[6:7], v[4:5], off
	buffer_wbl2
	s_waitcnt vmcnt(0)
	global_atomic_cmpswap_x2 v[10:11], v8, v[2:5], s[10:11] offset:24 glc
	s_waitcnt vmcnt(0)
	v_cmp_eq_u64_e32 vcc, v[10:11], v[4:5]
	s_or_b64 s[6:7], vcc, s[6:7]
	v_pk_mov_b32 v[4:5], v[10:11], v[10:11] op_sel:[0,1]
	s_andn2_b64 exec, exec, s[6:7]
	s_cbranch_execnz .LBB6_1526
.LBB6_1527:
	s_or_b64 exec, exec, s[8:9]
	v_or_b32_e32 v0, v0, v40
	v_cmp_lt_i32_e32 vcc, -1, v0
	s_xor_b64 s[4:5], s[4:5], -1
	s_and_b64 s[4:5], vcc, s[4:5]
	s_mov_b64 s[34:35], 0
                                        ; implicit-def: $vgpr40
	s_and_saveexec_b64 s[6:7], s[4:5]
	s_xor_b64 s[4:5], exec, s[6:7]
	s_cbranch_execz .LBB6_1529
; %bb.1528:
	flat_load_dword v2, v[50:51]
	v_lshl_or_b32 v0, v38, 1, 1
	s_mov_b64 s[34:35], exec
	s_waitcnt vmcnt(0) lgkmcnt(0)
	v_ashrrev_i32_e32 v3, 31, v2
	v_add_u32_e32 v4, 1, v2
	flat_store_dword v[50:51], v4
	v_lshlrev_b64 v[4:5], 3, v[2:3]
	v_add_co_u32_e32 v4, vcc, v50, v4
	v_addc_co_u32_e32 v5, vcc, v51, v5, vcc
	flat_store_dwordx2 v[4:5], v[0:1] offset:8
	v_lshl_or_b32 v40, v2, 1, 1
.LBB6_1529:
	s_or_saveexec_b64 s[36:37], s[4:5]
	s_mov_b64 s[4:5], s[26:27]
	s_xor_b64 exec, exec, s[36:37]
	s_cbranch_execz .LBB6_1531
; %bb.1530:
	s_getpc_b64 s[4:5]
	s_add_u32 s4, s4, .str.46@rel32@lo+4
	s_addc_u32 s5, s5, .str.46@rel32@hi+12
	s_getpc_b64 s[6:7]
	s_add_u32 s6, s6, .str.44@rel32@lo+4
	s_addc_u32 s7, s7, .str.44@rel32@hi+12
	s_getpc_b64 s[10:11]
	s_add_u32 s10, s10, __PRETTY_FUNCTION__._ZN8subgUtil18formAndNodeKeyFlagEiii@rel32@lo+4
	s_addc_u32 s11, s11, __PRETTY_FUNCTION__._ZN8subgUtil18formAndNodeKeyFlagEiii@rel32@hi+12
	s_mov_b64 s[8:9], s[48:49]
	v_mov_b32_e32 v0, s4
	v_mov_b32_e32 v1, s5
	;; [unrolled: 1-line block ×7, first 2 shown]
	s_getpc_b64 s[12:13]
	s_add_u32 s12, s12, __assert_fail@rel32@lo+4
	s_addc_u32 s13, s13, __assert_fail@rel32@hi+12
	s_swappc_b64 s[30:31], s[12:13]
	s_or_b64 s[4:5], s[26:27], exec
                                        ; implicit-def: $vgpr40
.LBB6_1531:
	s_or_b64 exec, exec, s[36:37]
	s_andn2_b64 s[6:7], s[26:27], exec
	s_and_b64 s[4:5], s[4:5], exec
	s_or_b64 s[26:27], s[6:7], s[4:5]
	s_and_b64 s[6:7], s[34:35], exec
.LBB6_1532:
	s_or_b64 exec, exec, s[28:29]
	s_andn2_b64 s[4:5], s[38:39], exec
	s_and_b64 s[8:9], s[26:27], exec
	v_readlane_b32 s34, v62, 8
	v_readlane_b32 s36, v62, 6
	;; [unrolled: 1-line block ×5, first 2 shown]
	s_or_b64 s[4:5], s[4:5], s[8:9]
	s_orn2_b64 s[6:7], s[6:7], exec
	v_readlane_b32 s35, v62, 9
	v_readlane_b32 s37, v62, 7
	;; [unrolled: 1-line block ×5, first 2 shown]
.LBB6_1533:
	s_or_b64 exec, exec, s[44:45]
	s_mov_b64 s[14:15], s[10:11]
	s_and_saveexec_b64 s[8:9], s[6:7]
; %bb.1534:
	s_or_b64 s[14:15], s[10:11], exec
; %bb.1535:
	s_or_b64 exec, exec, s[8:9]
	s_andn2_b64 s[6:7], s[38:39], exec
	s_and_b64 s[4:5], s[4:5], exec
	s_or_b64 s[8:9], s[6:7], s[4:5]
	s_andn2_b64 s[6:7], s[10:11], exec
	s_and_b64 s[14:15], s[14:15], exec
	s_xor_b64 s[4:5], exec, -1
	s_or_b64 s[6:7], s[6:7], s[14:15]
.LBB6_1536:
	s_or_b64 exec, exec, s[42:43]
	s_andn2_b64 s[14:15], s[38:39], exec
	s_and_b64 s[8:9], s[8:9], exec
	s_or_b64 s[38:39], s[14:15], s[8:9]
	s_andn2_b64 s[8:9], s[10:11], exec
	s_and_b64 s[6:7], s[6:7], exec
	s_and_b64 s[4:5], s[4:5], exec
	s_or_b64 s[6:7], s[8:9], s[6:7]
.LBB6_1537:
	s_or_b64 exec, exec, s[40:41]
	s_andn2_b64 s[8:9], s[76:77], exec
	s_and_b64 s[14:15], s[38:39], exec
	s_or_b64 s[76:77], s[8:9], s[14:15]
	s_andn2_b64 s[8:9], s[10:11], exec
	s_and_b64 s[6:7], s[6:7], exec
	s_and_b64 s[4:5], s[4:5], exec
	s_or_b64 s[6:7], s[8:9], s[6:7]
.LBB6_1538:
	s_or_b64 exec, exec, s[78:79]
	s_andn2_b64 s[8:9], s[72:73], exec
	s_and_b64 s[14:15], s[76:77], exec
	s_or_b64 s[72:73], s[8:9], s[14:15]
	s_andn2_b64 s[8:9], s[10:11], exec
	s_and_b64 s[6:7], s[6:7], exec
	s_and_b64 s[4:5], s[4:5], exec
	s_or_b64 s[8:9], s[8:9], s[6:7]
.LBB6_1539:
	s_or_b64 exec, exec, s[74:75]
	s_andn2_b64 s[6:7], s[68:69], exec
	s_and_b64 s[14:15], s[72:73], exec
	s_andn2_b64 s[16:17], s[10:11], exec
	s_and_b64 s[8:9], s[8:9], exec
	s_or_b64 s[14:15], s[6:7], s[14:15]
	s_xor_b64 s[6:7], exec, -1
	s_and_b64 s[4:5], s[4:5], exec
	s_or_b64 s[8:9], s[16:17], s[8:9]
.LBB6_1540:
	s_or_b64 exec, exec, s[70:71]
	s_andn2_b64 s[16:17], s[68:69], exec
	s_and_b64 s[14:15], s[14:15], exec
	s_and_b64 s[40:41], s[6:7], exec
	;; [unrolled: 1-line block ×3, first 2 shown]
	s_andn2_b64 s[4:5], s[10:11], exec
	s_and_b64 s[6:7], s[8:9], exec
	s_or_b64 s[68:69], s[16:17], s[14:15]
	s_or_b64 s[10:11], s[4:5], s[6:7]
.LBB6_1541:
	s_or_b64 exec, exec, s[12:13]
	s_and_saveexec_b64 s[4:5], s[10:11]
	s_or_b64 exec, exec, s[4:5]
	s_and_saveexec_b64 s[4:5], s[38:39]
	s_xor_b64 s[26:27], exec, s[4:5]
	s_cbranch_execz .LBB6_1543
; %bb.1542:
	s_getpc_b64 s[4:5]
	s_add_u32 s4, s4, .str.46@rel32@lo+4
	s_addc_u32 s5, s5, .str.46@rel32@hi+12
	s_getpc_b64 s[6:7]
	s_add_u32 s6, s6, .str.44@rel32@lo+4
	s_addc_u32 s7, s7, .str.44@rel32@hi+12
	s_getpc_b64 s[10:11]
	s_add_u32 s10, s10, __PRETTY_FUNCTION__._ZN8subgUtil18formAndNodeKeyFlagEiii@rel32@lo+4
	s_addc_u32 s11, s11, __PRETTY_FUNCTION__._ZN8subgUtil18formAndNodeKeyFlagEiii@rel32@hi+12
	s_mov_b64 s[8:9], s[48:49]
	v_mov_b32_e32 v0, s4
	v_mov_b32_e32 v1, s5
	s_waitcnt lgkmcnt(0)
	v_mov_b32_e32 v2, s6
	v_mov_b32_e32 v3, s7
	;; [unrolled: 1-line block ×5, first 2 shown]
	s_getpc_b64 s[12:13]
	s_add_u32 s12, s12, __assert_fail@rel32@lo+4
	s_addc_u32 s13, s13, __assert_fail@rel32@hi+12
	s_swappc_b64 s[30:31], s[12:13]
	s_or_b64 s[68:69], s[68:69], exec
                                        ; implicit-def: $vgpr40
.LBB6_1543:
	s_or_b64 exec, exec, s[26:27]
	s_and_saveexec_b64 s[26:27], s[40:41]
	s_cbranch_execz .LBB6_1690
; %bb.1544:
	s_load_dwordx2 s[6:7], s[48:49], 0x50
	v_mbcnt_lo_u32_b32 v0, -1, 0
	v_mbcnt_hi_u32_b32 v31, -1, v0
	v_readfirstlane_b32 s4, v31
	v_cmp_eq_u32_e64 s[4:5], s4, v31
	v_pk_mov_b32 v[6:7], 0, 0
	s_and_saveexec_b64 s[8:9], s[4:5]
	s_cbranch_execz .LBB6_1550
; %bb.1545:
	v_mov_b32_e32 v0, 0
	s_waitcnt lgkmcnt(0)
	global_load_dwordx2 v[4:5], v0, s[6:7] offset:24 glc
	s_waitcnt vmcnt(0)
	buffer_invl2
	buffer_wbinvl1_vol
	global_load_dwordx2 v[2:3], v0, s[6:7] offset:40
	global_load_dwordx2 v[6:7], v0, s[6:7]
	s_waitcnt vmcnt(1)
	v_and_b32_e32 v1, v2, v4
	v_and_b32_e32 v2, v3, v5
	v_mul_lo_u32 v2, v2, 24
	v_mul_hi_u32 v3, v1, 24
	v_mul_lo_u32 v1, v1, 24
	v_add_u32_e32 v3, v3, v2
	s_waitcnt vmcnt(0)
	v_add_co_u32_e32 v2, vcc, v6, v1
	v_addc_co_u32_e32 v3, vcc, v7, v3, vcc
	global_load_dwordx2 v[2:3], v[2:3], off glc
	s_waitcnt vmcnt(0)
	global_atomic_cmpswap_x2 v[6:7], v0, v[2:5], s[6:7] offset:24 glc
	s_waitcnt vmcnt(0)
	buffer_invl2
	buffer_wbinvl1_vol
	v_cmp_ne_u64_e32 vcc, v[6:7], v[4:5]
	s_and_saveexec_b64 s[10:11], vcc
	s_cbranch_execz .LBB6_1549
; %bb.1546:
	s_mov_b64 s[12:13], 0
.LBB6_1547:                             ; =>This Inner Loop Header: Depth=1
	s_sleep 1
	global_load_dwordx2 v[2:3], v0, s[6:7] offset:40
	global_load_dwordx2 v[8:9], v0, s[6:7]
	v_pk_mov_b32 v[4:5], v[6:7], v[6:7] op_sel:[0,1]
	s_waitcnt vmcnt(1)
	v_and_b32_e32 v2, v2, v4
	v_and_b32_e32 v1, v3, v5
	s_waitcnt vmcnt(0)
	v_mad_u64_u32 v[2:3], s[14:15], v2, 24, v[8:9]
	v_mov_b32_e32 v6, v3
	v_mad_u64_u32 v[6:7], s[14:15], v1, 24, v[6:7]
	v_mov_b32_e32 v3, v6
	global_load_dwordx2 v[2:3], v[2:3], off glc
	s_waitcnt vmcnt(0)
	global_atomic_cmpswap_x2 v[6:7], v0, v[2:5], s[6:7] offset:24 glc
	s_waitcnt vmcnt(0)
	buffer_invl2
	buffer_wbinvl1_vol
	v_cmp_eq_u64_e32 vcc, v[6:7], v[4:5]
	s_or_b64 s[12:13], vcc, s[12:13]
	s_andn2_b64 exec, exec, s[12:13]
	s_cbranch_execnz .LBB6_1547
; %bb.1548:
	s_or_b64 exec, exec, s[12:13]
.LBB6_1549:
	s_or_b64 exec, exec, s[10:11]
.LBB6_1550:
	s_or_b64 exec, exec, s[8:9]
	v_mov_b32_e32 v5, 0
	s_waitcnt lgkmcnt(0)
	global_load_dwordx2 v[8:9], v5, s[6:7] offset:40
	global_load_dwordx4 v[0:3], v5, s[6:7]
	v_readfirstlane_b32 s8, v6
	v_readfirstlane_b32 s9, v7
	s_mov_b64 s[10:11], exec
	s_waitcnt vmcnt(0)
	v_readfirstlane_b32 s12, v8
	v_readfirstlane_b32 s13, v9
	s_and_b64 s[12:13], s[8:9], s[12:13]
	s_mul_i32 s14, s13, 24
	s_mul_hi_u32 s15, s12, 24
	s_mul_i32 s16, s12, 24
	s_add_i32 s14, s15, s14
	v_mov_b32_e32 v4, s14
	v_add_co_u32_e32 v8, vcc, s16, v0
	v_addc_co_u32_e32 v9, vcc, v1, v4, vcc
	s_and_saveexec_b64 s[14:15], s[4:5]
	s_cbranch_execz .LBB6_1552
; %bb.1551:
	v_pk_mov_b32 v[10:11], s[10:11], s[10:11] op_sel:[0,1]
	v_mov_b32_e32 v12, 2
	v_mov_b32_e32 v13, 1
	global_store_dwordx4 v[8:9], v[10:13], off offset:8
.LBB6_1552:
	s_or_b64 exec, exec, s[14:15]
	s_lshl_b64 s[10:11], s[12:13], 12
	v_mov_b32_e32 v4, s11
	v_add_co_u32_e32 v2, vcc, s10, v2
	v_addc_co_u32_e32 v3, vcc, v3, v4, vcc
	s_mov_b32 s12, 0
	v_lshlrev_b32_e32 v30, 6, v31
	v_add_co_u32_e32 v10, vcc, v2, v30
	v_mov_b32_e32 v4, 33
	v_mov_b32_e32 v6, v5
	;; [unrolled: 1-line block ×3, first 2 shown]
	v_readfirstlane_b32 s10, v2
	v_readfirstlane_b32 s11, v3
	s_mov_b32 s13, s12
	v_addc_co_u32_e32 v11, vcc, 0, v3, vcc
	s_mov_b32 s14, s12
	s_mov_b32 s15, s12
	s_nop 0
	global_store_dwordx4 v30, v[4:7], s[10:11]
	v_pk_mov_b32 v[2:3], s[12:13], s[12:13] op_sel:[0,1]
	v_pk_mov_b32 v[4:5], s[14:15], s[14:15] op_sel:[0,1]
	global_store_dwordx4 v30, v[2:5], s[10:11] offset:16
	global_store_dwordx4 v30, v[2:5], s[10:11] offset:32
	;; [unrolled: 1-line block ×3, first 2 shown]
	s_and_saveexec_b64 s[10:11], s[4:5]
	s_cbranch_execz .LBB6_1560
; %bb.1553:
	v_mov_b32_e32 v6, 0
	global_load_dwordx2 v[14:15], v6, s[6:7] offset:32 glc
	global_load_dwordx2 v[2:3], v6, s[6:7] offset:40
	v_mov_b32_e32 v12, s8
	v_mov_b32_e32 v13, s9
	s_waitcnt vmcnt(0)
	v_and_b32_e32 v2, s8, v2
	v_and_b32_e32 v3, s9, v3
	v_mul_lo_u32 v3, v3, 24
	v_mul_hi_u32 v4, v2, 24
	v_mul_lo_u32 v2, v2, 24
	v_add_u32_e32 v3, v4, v3
	v_add_co_u32_e32 v4, vcc, v0, v2
	v_addc_co_u32_e32 v5, vcc, v1, v3, vcc
	global_store_dwordx2 v[4:5], v[14:15], off
	buffer_wbl2
	s_waitcnt vmcnt(0)
	global_atomic_cmpswap_x2 v[2:3], v6, v[12:15], s[6:7] offset:32 glc
	s_waitcnt vmcnt(0)
	v_cmp_ne_u64_e32 vcc, v[2:3], v[14:15]
	s_and_saveexec_b64 s[12:13], vcc
	s_cbranch_execz .LBB6_1556
; %bb.1554:
	s_mov_b64 s[14:15], 0
.LBB6_1555:                             ; =>This Inner Loop Header: Depth=1
	s_sleep 1
	global_store_dwordx2 v[4:5], v[2:3], off
	v_mov_b32_e32 v0, s8
	v_mov_b32_e32 v1, s9
	buffer_wbl2
	s_waitcnt vmcnt(0)
	global_atomic_cmpswap_x2 v[0:1], v6, v[0:3], s[6:7] offset:32 glc
	s_waitcnt vmcnt(0)
	v_cmp_eq_u64_e32 vcc, v[0:1], v[2:3]
	s_or_b64 s[14:15], vcc, s[14:15]
	v_pk_mov_b32 v[2:3], v[0:1], v[0:1] op_sel:[0,1]
	s_andn2_b64 exec, exec, s[14:15]
	s_cbranch_execnz .LBB6_1555
.LBB6_1556:
	s_or_b64 exec, exec, s[12:13]
	v_mov_b32_e32 v3, 0
	global_load_dwordx2 v[0:1], v3, s[6:7] offset:16
	s_mov_b64 s[12:13], exec
	v_mbcnt_lo_u32_b32 v2, s12, 0
	v_mbcnt_hi_u32_b32 v2, s13, v2
	v_cmp_eq_u32_e32 vcc, 0, v2
	s_and_saveexec_b64 s[14:15], vcc
	s_cbranch_execz .LBB6_1558
; %bb.1557:
	s_bcnt1_i32_b64 s12, s[12:13]
	v_mov_b32_e32 v2, s12
	buffer_wbl2
	s_waitcnt vmcnt(0)
	global_atomic_add_x2 v[0:1], v[2:3], off offset:8
.LBB6_1558:
	s_or_b64 exec, exec, s[14:15]
	s_waitcnt vmcnt(0)
	global_load_dwordx2 v[2:3], v[0:1], off offset:16
	s_waitcnt vmcnt(0)
	v_cmp_eq_u64_e32 vcc, 0, v[2:3]
	s_cbranch_vccnz .LBB6_1560
; %bb.1559:
	global_load_dword v0, v[0:1], off offset:24
	v_mov_b32_e32 v1, 0
	buffer_wbl2
	s_waitcnt vmcnt(0)
	global_store_dwordx2 v[2:3], v[0:1], off
	v_and_b32_e32 v0, 0xffffff, v0
	v_readfirstlane_b32 m0, v0
	s_sendmsg sendmsg(MSG_INTERRUPT)
.LBB6_1560:
	s_or_b64 exec, exec, s[10:11]
	s_branch .LBB6_1562
.LBB6_1561:
	s_branch .LBB6_1566
.LBB6_1562:                             ; =>This Inner Loop Header: Depth=1
	v_mov_b32_e32 v0, 1
	s_and_saveexec_b64 s[10:11], s[4:5]
	s_cbranch_execz .LBB6_1564
; %bb.1563:                             ;   in Loop: Header=BB6_1562 Depth=1
	global_load_dword v0, v[8:9], off offset:20 glc
	s_waitcnt vmcnt(0)
	buffer_invl2
	buffer_wbinvl1_vol
	v_and_b32_e32 v0, 1, v0
.LBB6_1564:                             ;   in Loop: Header=BB6_1562 Depth=1
	s_or_b64 exec, exec, s[10:11]
	v_readfirstlane_b32 s10, v0
	s_cmp_eq_u32 s10, 0
	s_cbranch_scc1 .LBB6_1561
; %bb.1565:                             ;   in Loop: Header=BB6_1562 Depth=1
	s_sleep 1
	s_cbranch_execnz .LBB6_1562
.LBB6_1566:
	global_load_dwordx2 v[0:1], v[10:11], off
	s_and_saveexec_b64 s[10:11], s[4:5]
	s_cbranch_execz .LBB6_1569
; %bb.1567:
	v_mov_b32_e32 v8, 0
	global_load_dwordx2 v[6:7], v8, s[6:7] offset:40
	global_load_dwordx2 v[10:11], v8, s[6:7] offset:24 glc
	global_load_dwordx2 v[12:13], v8, s[6:7]
	v_mov_b32_e32 v3, s9
	s_mov_b64 s[4:5], 0
	s_waitcnt vmcnt(2)
	v_add_co_u32_e32 v5, vcc, 1, v6
	v_addc_co_u32_e32 v9, vcc, 0, v7, vcc
	v_add_co_u32_e32 v2, vcc, s8, v5
	v_addc_co_u32_e32 v3, vcc, v9, v3, vcc
	v_cmp_eq_u64_e32 vcc, 0, v[2:3]
	v_cndmask_b32_e32 v3, v3, v9, vcc
	v_cndmask_b32_e32 v2, v2, v5, vcc
	v_and_b32_e32 v5, v3, v7
	v_and_b32_e32 v6, v2, v6
	v_mul_lo_u32 v5, v5, 24
	v_mul_hi_u32 v7, v6, 24
	v_mul_lo_u32 v6, v6, 24
	v_add_u32_e32 v5, v7, v5
	s_waitcnt vmcnt(0)
	v_add_co_u32_e32 v6, vcc, v12, v6
	v_addc_co_u32_e32 v7, vcc, v13, v5, vcc
	v_mov_b32_e32 v4, v10
	global_store_dwordx2 v[6:7], v[10:11], off
	v_mov_b32_e32 v5, v11
	buffer_wbl2
	s_waitcnt vmcnt(0)
	global_atomic_cmpswap_x2 v[4:5], v8, v[2:5], s[6:7] offset:24 glc
	s_waitcnt vmcnt(0)
	v_cmp_ne_u64_e32 vcc, v[4:5], v[10:11]
	s_and_b64 exec, exec, vcc
	s_cbranch_execz .LBB6_1569
.LBB6_1568:                             ; =>This Inner Loop Header: Depth=1
	s_sleep 1
	global_store_dwordx2 v[6:7], v[4:5], off
	buffer_wbl2
	s_waitcnt vmcnt(0)
	global_atomic_cmpswap_x2 v[10:11], v8, v[2:5], s[6:7] offset:24 glc
	s_waitcnt vmcnt(0)
	v_cmp_eq_u64_e32 vcc, v[10:11], v[4:5]
	s_or_b64 s[4:5], vcc, s[4:5]
	v_pk_mov_b32 v[4:5], v[10:11], v[10:11] op_sel:[0,1]
	s_andn2_b64 exec, exec, s[4:5]
	s_cbranch_execnz .LBB6_1568
.LBB6_1569:
	s_or_b64 exec, exec, s[10:11]
	s_getpc_b64 s[8:9]
	s_add_u32 s8, s8, .str.28@rel32@lo+4
	s_addc_u32 s9, s9, .str.28@rel32@hi+12
	s_cmp_lg_u64 s[8:9], 0
	s_cbranch_scc0 .LBB6_1661
; %bb.1570:
	s_waitcnt vmcnt(0)
	v_and_b32_e32 v6, -3, v0
	v_mov_b32_e32 v7, v1
	s_mov_b64 s[10:11], 35
	v_mov_b32_e32 v27, 0
	v_mov_b32_e32 v4, 2
	v_mov_b32_e32 v5, 1
	s_branch .LBB6_1572
.LBB6_1571:                             ;   in Loop: Header=BB6_1572 Depth=1
	s_or_b64 exec, exec, s[16:17]
	s_sub_u32 s10, s10, s12
	s_subb_u32 s11, s11, s13
	s_add_u32 s8, s8, s12
	s_addc_u32 s9, s9, s13
	s_cmp_lg_u64 s[10:11], 0
	s_cbranch_scc0 .LBB6_1660
.LBB6_1572:                             ; =>This Loop Header: Depth=1
                                        ;     Child Loop BB6_1575 Depth 2
                                        ;     Child Loop BB6_1583 Depth 2
                                        ;     Child Loop BB6_1592 Depth 2
                                        ;     Child Loop BB6_1601 Depth 2
                                        ;     Child Loop BB6_1610 Depth 2
                                        ;     Child Loop BB6_1619 Depth 2
                                        ;     Child Loop BB6_1628 Depth 2
                                        ;     Child Loop BB6_1637 Depth 2
                                        ;     Child Loop BB6_1645 Depth 2
                                        ;     Child Loop BB6_1652 Depth 2
                                        ;     Child Loop BB6_1659 Depth 2
	v_cmp_lt_u64_e64 s[4:5], s[10:11], 56
	s_and_b64 s[4:5], s[4:5], exec
	v_cmp_gt_u64_e64 s[4:5], s[10:11], 7
	s_cselect_b32 s13, s11, 0
	s_cselect_b32 s12, s10, 56
	s_and_b64 vcc, exec, s[4:5]
	s_cbranch_vccnz .LBB6_1577
; %bb.1573:                             ;   in Loop: Header=BB6_1572 Depth=1
	s_mov_b64 s[4:5], 0
	s_cmp_eq_u64 s[10:11], 0
	s_waitcnt vmcnt(0)
	v_pk_mov_b32 v[8:9], 0, 0
	s_cbranch_scc1 .LBB6_1576
; %bb.1574:                             ;   in Loop: Header=BB6_1572 Depth=1
	s_lshl_b64 s[14:15], s[12:13], 3
	s_mov_b64 s[16:17], 0
	v_pk_mov_b32 v[8:9], 0, 0
	s_mov_b64 s[18:19], s[8:9]
.LBB6_1575:                             ;   Parent Loop BB6_1572 Depth=1
                                        ; =>  This Inner Loop Header: Depth=2
	global_load_ubyte v2, v27, s[18:19]
	s_waitcnt vmcnt(0)
	v_and_b32_e32 v26, 0xffff, v2
	v_lshlrev_b64 v[2:3], s16, v[26:27]
	s_add_u32 s16, s16, 8
	s_addc_u32 s17, s17, 0
	s_add_u32 s18, s18, 1
	s_addc_u32 s19, s19, 0
	v_or_b32_e32 v8, v2, v8
	s_cmp_lg_u32 s14, s16
	v_or_b32_e32 v9, v3, v9
	s_cbranch_scc1 .LBB6_1575
.LBB6_1576:                             ;   in Loop: Header=BB6_1572 Depth=1
	s_mov_b32 s18, 0
	s_branch .LBB6_1578
.LBB6_1577:                             ;   in Loop: Header=BB6_1572 Depth=1
	s_mov_b64 s[4:5], -1
                                        ; implicit-def: $sgpr18
.LBB6_1578:                             ;   in Loop: Header=BB6_1572 Depth=1
	s_andn2_b64 vcc, exec, s[4:5]
	s_mov_b64 s[4:5], s[8:9]
	s_cbranch_vccnz .LBB6_1580
; %bb.1579:                             ;   in Loop: Header=BB6_1572 Depth=1
	global_load_dwordx2 v[8:9], v27, s[8:9]
	s_add_i32 s18, s12, -8
	s_add_u32 s4, s8, 8
	s_addc_u32 s5, s9, 0
.LBB6_1580:                             ;   in Loop: Header=BB6_1572 Depth=1
	s_cmp_gt_u32 s18, 7
	s_cbranch_scc1 .LBB6_1584
; %bb.1581:                             ;   in Loop: Header=BB6_1572 Depth=1
	s_cmp_eq_u32 s18, 0
	s_cbranch_scc1 .LBB6_1585
; %bb.1582:                             ;   in Loop: Header=BB6_1572 Depth=1
	s_mov_b64 s[14:15], 0
	v_pk_mov_b32 v[10:11], 0, 0
	s_mov_b64 s[16:17], 0
.LBB6_1583:                             ;   Parent Loop BB6_1572 Depth=1
                                        ; =>  This Inner Loop Header: Depth=2
	s_add_u32 s20, s4, s16
	s_addc_u32 s21, s5, s17
	global_load_ubyte v2, v27, s[20:21]
	s_add_u32 s16, s16, 1
	s_addc_u32 s17, s17, 0
	s_waitcnt vmcnt(0)
	v_and_b32_e32 v26, 0xffff, v2
	v_lshlrev_b64 v[2:3], s14, v[26:27]
	s_add_u32 s14, s14, 8
	s_addc_u32 s15, s15, 0
	v_or_b32_e32 v10, v2, v10
	s_cmp_lg_u32 s18, s16
	v_or_b32_e32 v11, v3, v11
	s_cbranch_scc1 .LBB6_1583
	s_branch .LBB6_1586
.LBB6_1584:                             ;   in Loop: Header=BB6_1572 Depth=1
	s_mov_b64 s[14:15], -1
                                        ; implicit-def: $vgpr10_vgpr11
                                        ; implicit-def: $sgpr19
	s_branch .LBB6_1587
.LBB6_1585:                             ;   in Loop: Header=BB6_1572 Depth=1
	v_pk_mov_b32 v[10:11], 0, 0
.LBB6_1586:                             ;   in Loop: Header=BB6_1572 Depth=1
	s_mov_b64 s[14:15], 0
	s_mov_b32 s19, 0
.LBB6_1587:                             ;   in Loop: Header=BB6_1572 Depth=1
	s_andn2_b64 vcc, exec, s[14:15]
	s_cbranch_vccnz .LBB6_1589
; %bb.1588:                             ;   in Loop: Header=BB6_1572 Depth=1
	global_load_dwordx2 v[10:11], v27, s[4:5]
	s_add_i32 s19, s18, -8
	s_add_u32 s4, s4, 8
	s_addc_u32 s5, s5, 0
.LBB6_1589:                             ;   in Loop: Header=BB6_1572 Depth=1
	s_cmp_gt_u32 s19, 7
	s_cbranch_scc1 .LBB6_1593
; %bb.1590:                             ;   in Loop: Header=BB6_1572 Depth=1
	s_cmp_eq_u32 s19, 0
	s_cbranch_scc1 .LBB6_1594
; %bb.1591:                             ;   in Loop: Header=BB6_1572 Depth=1
	s_mov_b64 s[14:15], 0
	v_pk_mov_b32 v[12:13], 0, 0
	s_mov_b64 s[16:17], 0
.LBB6_1592:                             ;   Parent Loop BB6_1572 Depth=1
                                        ; =>  This Inner Loop Header: Depth=2
	s_add_u32 s20, s4, s16
	s_addc_u32 s21, s5, s17
	global_load_ubyte v2, v27, s[20:21]
	s_add_u32 s16, s16, 1
	s_addc_u32 s17, s17, 0
	s_waitcnt vmcnt(0)
	v_and_b32_e32 v26, 0xffff, v2
	v_lshlrev_b64 v[2:3], s14, v[26:27]
	s_add_u32 s14, s14, 8
	s_addc_u32 s15, s15, 0
	v_or_b32_e32 v12, v2, v12
	s_cmp_lg_u32 s19, s16
	v_or_b32_e32 v13, v3, v13
	s_cbranch_scc1 .LBB6_1592
	s_branch .LBB6_1595
.LBB6_1593:                             ;   in Loop: Header=BB6_1572 Depth=1
	s_mov_b64 s[14:15], -1
                                        ; implicit-def: $sgpr18
	s_branch .LBB6_1596
.LBB6_1594:                             ;   in Loop: Header=BB6_1572 Depth=1
	v_pk_mov_b32 v[12:13], 0, 0
.LBB6_1595:                             ;   in Loop: Header=BB6_1572 Depth=1
	s_mov_b64 s[14:15], 0
	s_mov_b32 s18, 0
.LBB6_1596:                             ;   in Loop: Header=BB6_1572 Depth=1
	s_andn2_b64 vcc, exec, s[14:15]
	s_cbranch_vccnz .LBB6_1598
; %bb.1597:                             ;   in Loop: Header=BB6_1572 Depth=1
	global_load_dwordx2 v[12:13], v27, s[4:5]
	s_add_i32 s18, s19, -8
	s_add_u32 s4, s4, 8
	s_addc_u32 s5, s5, 0
.LBB6_1598:                             ;   in Loop: Header=BB6_1572 Depth=1
	s_cmp_gt_u32 s18, 7
	s_cbranch_scc1 .LBB6_1602
; %bb.1599:                             ;   in Loop: Header=BB6_1572 Depth=1
	s_cmp_eq_u32 s18, 0
	s_cbranch_scc1 .LBB6_1603
; %bb.1600:                             ;   in Loop: Header=BB6_1572 Depth=1
	s_mov_b64 s[14:15], 0
	v_pk_mov_b32 v[14:15], 0, 0
	s_mov_b64 s[16:17], 0
.LBB6_1601:                             ;   Parent Loop BB6_1572 Depth=1
                                        ; =>  This Inner Loop Header: Depth=2
	s_add_u32 s20, s4, s16
	s_addc_u32 s21, s5, s17
	global_load_ubyte v2, v27, s[20:21]
	s_add_u32 s16, s16, 1
	s_addc_u32 s17, s17, 0
	s_waitcnt vmcnt(0)
	v_and_b32_e32 v26, 0xffff, v2
	v_lshlrev_b64 v[2:3], s14, v[26:27]
	s_add_u32 s14, s14, 8
	s_addc_u32 s15, s15, 0
	v_or_b32_e32 v14, v2, v14
	s_cmp_lg_u32 s18, s16
	v_or_b32_e32 v15, v3, v15
	s_cbranch_scc1 .LBB6_1601
	s_branch .LBB6_1604
.LBB6_1602:                             ;   in Loop: Header=BB6_1572 Depth=1
	s_mov_b64 s[14:15], -1
                                        ; implicit-def: $vgpr14_vgpr15
                                        ; implicit-def: $sgpr19
	s_branch .LBB6_1605
.LBB6_1603:                             ;   in Loop: Header=BB6_1572 Depth=1
	v_pk_mov_b32 v[14:15], 0, 0
.LBB6_1604:                             ;   in Loop: Header=BB6_1572 Depth=1
	s_mov_b64 s[14:15], 0
	s_mov_b32 s19, 0
.LBB6_1605:                             ;   in Loop: Header=BB6_1572 Depth=1
	s_andn2_b64 vcc, exec, s[14:15]
	s_cbranch_vccnz .LBB6_1607
; %bb.1606:                             ;   in Loop: Header=BB6_1572 Depth=1
	global_load_dwordx2 v[14:15], v27, s[4:5]
	s_add_i32 s19, s18, -8
	s_add_u32 s4, s4, 8
	s_addc_u32 s5, s5, 0
.LBB6_1607:                             ;   in Loop: Header=BB6_1572 Depth=1
	s_cmp_gt_u32 s19, 7
	s_cbranch_scc1 .LBB6_1611
; %bb.1608:                             ;   in Loop: Header=BB6_1572 Depth=1
	s_cmp_eq_u32 s19, 0
	s_cbranch_scc1 .LBB6_1612
; %bb.1609:                             ;   in Loop: Header=BB6_1572 Depth=1
	s_mov_b64 s[14:15], 0
	v_pk_mov_b32 v[16:17], 0, 0
	s_mov_b64 s[16:17], 0
.LBB6_1610:                             ;   Parent Loop BB6_1572 Depth=1
                                        ; =>  This Inner Loop Header: Depth=2
	s_add_u32 s20, s4, s16
	s_addc_u32 s21, s5, s17
	global_load_ubyte v2, v27, s[20:21]
	s_add_u32 s16, s16, 1
	s_addc_u32 s17, s17, 0
	s_waitcnt vmcnt(0)
	v_and_b32_e32 v26, 0xffff, v2
	v_lshlrev_b64 v[2:3], s14, v[26:27]
	s_add_u32 s14, s14, 8
	s_addc_u32 s15, s15, 0
	v_or_b32_e32 v16, v2, v16
	s_cmp_lg_u32 s19, s16
	v_or_b32_e32 v17, v3, v17
	s_cbranch_scc1 .LBB6_1610
	s_branch .LBB6_1613
.LBB6_1611:                             ;   in Loop: Header=BB6_1572 Depth=1
	s_mov_b64 s[14:15], -1
                                        ; implicit-def: $sgpr18
	s_branch .LBB6_1614
.LBB6_1612:                             ;   in Loop: Header=BB6_1572 Depth=1
	v_pk_mov_b32 v[16:17], 0, 0
.LBB6_1613:                             ;   in Loop: Header=BB6_1572 Depth=1
	s_mov_b64 s[14:15], 0
	s_mov_b32 s18, 0
.LBB6_1614:                             ;   in Loop: Header=BB6_1572 Depth=1
	s_andn2_b64 vcc, exec, s[14:15]
	s_cbranch_vccnz .LBB6_1616
; %bb.1615:                             ;   in Loop: Header=BB6_1572 Depth=1
	global_load_dwordx2 v[16:17], v27, s[4:5]
	s_add_i32 s18, s19, -8
	s_add_u32 s4, s4, 8
	s_addc_u32 s5, s5, 0
.LBB6_1616:                             ;   in Loop: Header=BB6_1572 Depth=1
	s_cmp_gt_u32 s18, 7
	s_cbranch_scc1 .LBB6_1620
; %bb.1617:                             ;   in Loop: Header=BB6_1572 Depth=1
	s_cmp_eq_u32 s18, 0
	s_cbranch_scc1 .LBB6_1621
; %bb.1618:                             ;   in Loop: Header=BB6_1572 Depth=1
	s_mov_b64 s[14:15], 0
	v_pk_mov_b32 v[18:19], 0, 0
	s_mov_b64 s[16:17], 0
.LBB6_1619:                             ;   Parent Loop BB6_1572 Depth=1
                                        ; =>  This Inner Loop Header: Depth=2
	s_add_u32 s20, s4, s16
	s_addc_u32 s21, s5, s17
	global_load_ubyte v2, v27, s[20:21]
	s_add_u32 s16, s16, 1
	s_addc_u32 s17, s17, 0
	s_waitcnt vmcnt(0)
	v_and_b32_e32 v26, 0xffff, v2
	v_lshlrev_b64 v[2:3], s14, v[26:27]
	s_add_u32 s14, s14, 8
	s_addc_u32 s15, s15, 0
	v_or_b32_e32 v18, v2, v18
	s_cmp_lg_u32 s18, s16
	v_or_b32_e32 v19, v3, v19
	s_cbranch_scc1 .LBB6_1619
	s_branch .LBB6_1622
.LBB6_1620:                             ;   in Loop: Header=BB6_1572 Depth=1
	s_mov_b64 s[14:15], -1
                                        ; implicit-def: $vgpr18_vgpr19
                                        ; implicit-def: $sgpr19
	s_branch .LBB6_1623
.LBB6_1621:                             ;   in Loop: Header=BB6_1572 Depth=1
	v_pk_mov_b32 v[18:19], 0, 0
.LBB6_1622:                             ;   in Loop: Header=BB6_1572 Depth=1
	s_mov_b64 s[14:15], 0
	s_mov_b32 s19, 0
.LBB6_1623:                             ;   in Loop: Header=BB6_1572 Depth=1
	s_andn2_b64 vcc, exec, s[14:15]
	s_cbranch_vccnz .LBB6_1625
; %bb.1624:                             ;   in Loop: Header=BB6_1572 Depth=1
	global_load_dwordx2 v[18:19], v27, s[4:5]
	s_add_i32 s19, s18, -8
	s_add_u32 s4, s4, 8
	s_addc_u32 s5, s5, 0
.LBB6_1625:                             ;   in Loop: Header=BB6_1572 Depth=1
	s_cmp_gt_u32 s19, 7
	s_cbranch_scc1 .LBB6_1629
; %bb.1626:                             ;   in Loop: Header=BB6_1572 Depth=1
	s_cmp_eq_u32 s19, 0
	s_cbranch_scc1 .LBB6_1630
; %bb.1627:                             ;   in Loop: Header=BB6_1572 Depth=1
	s_mov_b64 s[14:15], 0
	v_pk_mov_b32 v[20:21], 0, 0
	s_mov_b64 s[16:17], s[4:5]
.LBB6_1628:                             ;   Parent Loop BB6_1572 Depth=1
                                        ; =>  This Inner Loop Header: Depth=2
	global_load_ubyte v2, v27, s[16:17]
	s_add_i32 s19, s19, -1
	s_waitcnt vmcnt(0)
	v_and_b32_e32 v26, 0xffff, v2
	v_lshlrev_b64 v[2:3], s14, v[26:27]
	s_add_u32 s14, s14, 8
	s_addc_u32 s15, s15, 0
	s_add_u32 s16, s16, 1
	s_addc_u32 s17, s17, 0
	v_or_b32_e32 v20, v2, v20
	s_cmp_lg_u32 s19, 0
	v_or_b32_e32 v21, v3, v21
	s_cbranch_scc1 .LBB6_1628
	s_branch .LBB6_1631
.LBB6_1629:                             ;   in Loop: Header=BB6_1572 Depth=1
	s_mov_b64 s[14:15], -1
	s_branch .LBB6_1632
.LBB6_1630:                             ;   in Loop: Header=BB6_1572 Depth=1
	v_pk_mov_b32 v[20:21], 0, 0
.LBB6_1631:                             ;   in Loop: Header=BB6_1572 Depth=1
	s_mov_b64 s[14:15], 0
.LBB6_1632:                             ;   in Loop: Header=BB6_1572 Depth=1
	s_andn2_b64 vcc, exec, s[14:15]
	s_cbranch_vccnz .LBB6_1634
; %bb.1633:                             ;   in Loop: Header=BB6_1572 Depth=1
	global_load_dwordx2 v[20:21], v27, s[4:5]
.LBB6_1634:                             ;   in Loop: Header=BB6_1572 Depth=1
	v_readfirstlane_b32 s4, v31
	v_cmp_eq_u32_e64 s[4:5], s4, v31
	v_pk_mov_b32 v[2:3], 0, 0
	s_and_saveexec_b64 s[14:15], s[4:5]
	s_cbranch_execz .LBB6_1640
; %bb.1635:                             ;   in Loop: Header=BB6_1572 Depth=1
	global_load_dwordx2 v[24:25], v27, s[6:7] offset:24 glc
	s_waitcnt vmcnt(0)
	buffer_invl2
	buffer_wbinvl1_vol
	global_load_dwordx2 v[2:3], v27, s[6:7] offset:40
	global_load_dwordx2 v[22:23], v27, s[6:7]
	s_waitcnt vmcnt(1)
	v_and_b32_e32 v2, v2, v24
	v_and_b32_e32 v3, v3, v25
	v_mul_lo_u32 v3, v3, 24
	v_mul_hi_u32 v26, v2, 24
	v_mul_lo_u32 v2, v2, 24
	v_add_u32_e32 v3, v26, v3
	s_waitcnt vmcnt(0)
	v_add_co_u32_e32 v2, vcc, v22, v2
	v_addc_co_u32_e32 v3, vcc, v23, v3, vcc
	global_load_dwordx2 v[22:23], v[2:3], off glc
	s_waitcnt vmcnt(0)
	global_atomic_cmpswap_x2 v[2:3], v27, v[22:25], s[6:7] offset:24 glc
	s_waitcnt vmcnt(0)
	buffer_invl2
	buffer_wbinvl1_vol
	v_cmp_ne_u64_e32 vcc, v[2:3], v[24:25]
	s_and_saveexec_b64 s[16:17], vcc
	s_cbranch_execz .LBB6_1639
; %bb.1636:                             ;   in Loop: Header=BB6_1572 Depth=1
	s_mov_b64 s[18:19], 0
.LBB6_1637:                             ;   Parent Loop BB6_1572 Depth=1
                                        ; =>  This Inner Loop Header: Depth=2
	s_sleep 1
	global_load_dwordx2 v[22:23], v27, s[6:7] offset:40
	global_load_dwordx2 v[28:29], v27, s[6:7]
	v_pk_mov_b32 v[24:25], v[2:3], v[2:3] op_sel:[0,1]
	s_waitcnt vmcnt(1)
	v_and_b32_e32 v2, v22, v24
	s_waitcnt vmcnt(0)
	v_mad_u64_u32 v[2:3], s[20:21], v2, 24, v[28:29]
	v_and_b32_e32 v23, v23, v25
	v_mov_b32_e32 v22, v3
	v_mad_u64_u32 v[22:23], s[20:21], v23, 24, v[22:23]
	v_mov_b32_e32 v3, v22
	global_load_dwordx2 v[22:23], v[2:3], off glc
	s_waitcnt vmcnt(0)
	global_atomic_cmpswap_x2 v[2:3], v27, v[22:25], s[6:7] offset:24 glc
	s_waitcnt vmcnt(0)
	buffer_invl2
	buffer_wbinvl1_vol
	v_cmp_eq_u64_e32 vcc, v[2:3], v[24:25]
	s_or_b64 s[18:19], vcc, s[18:19]
	s_andn2_b64 exec, exec, s[18:19]
	s_cbranch_execnz .LBB6_1637
; %bb.1638:                             ;   in Loop: Header=BB6_1572 Depth=1
	s_or_b64 exec, exec, s[18:19]
.LBB6_1639:                             ;   in Loop: Header=BB6_1572 Depth=1
	s_or_b64 exec, exec, s[16:17]
.LBB6_1640:                             ;   in Loop: Header=BB6_1572 Depth=1
	s_or_b64 exec, exec, s[14:15]
	global_load_dwordx2 v[28:29], v27, s[6:7] offset:40
	global_load_dwordx4 v[22:25], v27, s[6:7]
	v_readfirstlane_b32 s14, v2
	v_readfirstlane_b32 s15, v3
	s_mov_b64 s[16:17], exec
	s_waitcnt vmcnt(1)
	v_readfirstlane_b32 s18, v28
	v_readfirstlane_b32 s19, v29
	s_and_b64 s[18:19], s[14:15], s[18:19]
	s_mul_i32 s20, s19, 24
	s_mul_hi_u32 s21, s18, 24
	s_mul_i32 s22, s18, 24
	s_add_i32 s20, s21, s20
	v_mov_b32_e32 v2, s20
	s_waitcnt vmcnt(0)
	v_add_co_u32_e32 v28, vcc, s22, v22
	v_addc_co_u32_e32 v29, vcc, v23, v2, vcc
	s_and_saveexec_b64 s[20:21], s[4:5]
	s_cbranch_execz .LBB6_1642
; %bb.1641:                             ;   in Loop: Header=BB6_1572 Depth=1
	v_pk_mov_b32 v[2:3], s[16:17], s[16:17] op_sel:[0,1]
	global_store_dwordx4 v[28:29], v[2:5], off offset:8
.LBB6_1642:                             ;   in Loop: Header=BB6_1572 Depth=1
	s_or_b64 exec, exec, s[20:21]
	s_lshl_b64 s[16:17], s[18:19], 12
	v_mov_b32_e32 v3, s17
	v_add_co_u32_e32 v2, vcc, s16, v24
	v_addc_co_u32_e32 v3, vcc, v25, v3, vcc
	v_or_b32_e32 v24, 2, v6
	v_cmp_gt_u64_e64 vcc, s[10:11], 56
	s_lshl_b32 s16, s12, 2
	v_cndmask_b32_e32 v6, v24, v6, vcc
	s_add_i32 s16, s16, 28
	s_and_b32 s16, s16, 0x1e0
	v_and_b32_e32 v6, 0xffffff1f, v6
	v_or_b32_e32 v6, s16, v6
	v_readfirstlane_b32 s16, v2
	v_readfirstlane_b32 s17, v3
	s_nop 4
	global_store_dwordx4 v30, v[6:9], s[16:17]
	global_store_dwordx4 v30, v[10:13], s[16:17] offset:16
	global_store_dwordx4 v30, v[14:17], s[16:17] offset:32
	global_store_dwordx4 v30, v[18:21], s[16:17] offset:48
	s_and_saveexec_b64 s[16:17], s[4:5]
	s_cbranch_execz .LBB6_1650
; %bb.1643:                             ;   in Loop: Header=BB6_1572 Depth=1
	global_load_dwordx2 v[14:15], v27, s[6:7] offset:32 glc
	global_load_dwordx2 v[6:7], v27, s[6:7] offset:40
	v_mov_b32_e32 v12, s14
	v_mov_b32_e32 v13, s15
	s_waitcnt vmcnt(0)
	v_readfirstlane_b32 s18, v6
	v_readfirstlane_b32 s19, v7
	s_and_b64 s[18:19], s[18:19], s[14:15]
	s_mul_i32 s19, s19, 24
	s_mul_hi_u32 s20, s18, 24
	s_mul_i32 s18, s18, 24
	s_add_i32 s19, s20, s19
	v_mov_b32_e32 v6, s19
	v_add_co_u32_e32 v10, vcc, s18, v22
	v_addc_co_u32_e32 v11, vcc, v23, v6, vcc
	global_store_dwordx2 v[10:11], v[14:15], off
	buffer_wbl2
	s_waitcnt vmcnt(0)
	global_atomic_cmpswap_x2 v[8:9], v27, v[12:15], s[6:7] offset:32 glc
	s_waitcnt vmcnt(0)
	v_cmp_ne_u64_e32 vcc, v[8:9], v[14:15]
	s_and_saveexec_b64 s[18:19], vcc
	s_cbranch_execz .LBB6_1646
; %bb.1644:                             ;   in Loop: Header=BB6_1572 Depth=1
	s_mov_b64 s[20:21], 0
.LBB6_1645:                             ;   Parent Loop BB6_1572 Depth=1
                                        ; =>  This Inner Loop Header: Depth=2
	s_sleep 1
	global_store_dwordx2 v[10:11], v[8:9], off
	v_mov_b32_e32 v6, s14
	v_mov_b32_e32 v7, s15
	buffer_wbl2
	s_waitcnt vmcnt(0)
	global_atomic_cmpswap_x2 v[6:7], v27, v[6:9], s[6:7] offset:32 glc
	s_waitcnt vmcnt(0)
	v_cmp_eq_u64_e32 vcc, v[6:7], v[8:9]
	s_or_b64 s[20:21], vcc, s[20:21]
	v_pk_mov_b32 v[8:9], v[6:7], v[6:7] op_sel:[0,1]
	s_andn2_b64 exec, exec, s[20:21]
	s_cbranch_execnz .LBB6_1645
.LBB6_1646:                             ;   in Loop: Header=BB6_1572 Depth=1
	s_or_b64 exec, exec, s[18:19]
	global_load_dwordx2 v[6:7], v27, s[6:7] offset:16
	s_mov_b64 s[20:21], exec
	v_mbcnt_lo_u32_b32 v8, s20, 0
	v_mbcnt_hi_u32_b32 v8, s21, v8
	v_cmp_eq_u32_e32 vcc, 0, v8
	s_and_saveexec_b64 s[18:19], vcc
	s_cbranch_execz .LBB6_1648
; %bb.1647:                             ;   in Loop: Header=BB6_1572 Depth=1
	s_bcnt1_i32_b64 s20, s[20:21]
	v_mov_b32_e32 v26, s20
	buffer_wbl2
	s_waitcnt vmcnt(0)
	global_atomic_add_x2 v[6:7], v[26:27], off offset:8
.LBB6_1648:                             ;   in Loop: Header=BB6_1572 Depth=1
	s_or_b64 exec, exec, s[18:19]
	s_waitcnt vmcnt(0)
	global_load_dwordx2 v[8:9], v[6:7], off offset:16
	s_waitcnt vmcnt(0)
	v_cmp_eq_u64_e32 vcc, 0, v[8:9]
	s_cbranch_vccnz .LBB6_1650
; %bb.1649:                             ;   in Loop: Header=BB6_1572 Depth=1
	global_load_dword v26, v[6:7], off offset:24
	s_waitcnt vmcnt(0)
	v_and_b32_e32 v6, 0xffffff, v26
	v_readfirstlane_b32 m0, v6
	buffer_wbl2
	global_store_dwordx2 v[8:9], v[26:27], off
	s_sendmsg sendmsg(MSG_INTERRUPT)
.LBB6_1650:                             ;   in Loop: Header=BB6_1572 Depth=1
	s_or_b64 exec, exec, s[16:17]
	v_add_co_u32_e32 v2, vcc, v2, v30
	v_addc_co_u32_e32 v3, vcc, 0, v3, vcc
	s_branch .LBB6_1652
.LBB6_1651:                             ;   in Loop: Header=BB6_1572 Depth=1
	s_branch .LBB6_1656
.LBB6_1652:                             ;   Parent Loop BB6_1572 Depth=1
                                        ; =>  This Inner Loop Header: Depth=2
	v_mov_b32_e32 v6, 1
	s_and_saveexec_b64 s[16:17], s[4:5]
	s_cbranch_execz .LBB6_1654
; %bb.1653:                             ;   in Loop: Header=BB6_1652 Depth=2
	global_load_dword v6, v[28:29], off offset:20 glc
	s_waitcnt vmcnt(0)
	buffer_invl2
	buffer_wbinvl1_vol
	v_and_b32_e32 v6, 1, v6
.LBB6_1654:                             ;   in Loop: Header=BB6_1652 Depth=2
	s_or_b64 exec, exec, s[16:17]
	v_readfirstlane_b32 s16, v6
	s_cmp_eq_u32 s16, 0
	s_cbranch_scc1 .LBB6_1651
; %bb.1655:                             ;   in Loop: Header=BB6_1652 Depth=2
	s_sleep 1
	s_cbranch_execnz .LBB6_1652
.LBB6_1656:                             ;   in Loop: Header=BB6_1572 Depth=1
	global_load_dwordx4 v[6:9], v[2:3], off
	s_and_saveexec_b64 s[16:17], s[4:5]
	s_cbranch_execz .LBB6_1571
; %bb.1657:                             ;   in Loop: Header=BB6_1572 Depth=1
	global_load_dwordx2 v[2:3], v27, s[6:7] offset:40
	global_load_dwordx2 v[12:13], v27, s[6:7] offset:24 glc
	global_load_dwordx2 v[14:15], v27, s[6:7]
	s_waitcnt vmcnt(3)
	v_mov_b32_e32 v9, s15
	s_waitcnt vmcnt(2)
	v_add_co_u32_e32 v11, vcc, 1, v2
	v_addc_co_u32_e32 v16, vcc, 0, v3, vcc
	v_add_co_u32_e32 v8, vcc, s14, v11
	v_addc_co_u32_e32 v9, vcc, v16, v9, vcc
	v_cmp_eq_u64_e32 vcc, 0, v[8:9]
	v_cndmask_b32_e32 v9, v9, v16, vcc
	v_cndmask_b32_e32 v8, v8, v11, vcc
	v_and_b32_e32 v3, v9, v3
	v_and_b32_e32 v2, v8, v2
	v_mul_lo_u32 v3, v3, 24
	v_mul_hi_u32 v11, v2, 24
	v_mul_lo_u32 v2, v2, 24
	v_add_u32_e32 v3, v11, v3
	s_waitcnt vmcnt(0)
	v_add_co_u32_e32 v2, vcc, v14, v2
	v_addc_co_u32_e32 v3, vcc, v15, v3, vcc
	v_mov_b32_e32 v10, v12
	global_store_dwordx2 v[2:3], v[12:13], off
	v_mov_b32_e32 v11, v13
	buffer_wbl2
	s_waitcnt vmcnt(0)
	global_atomic_cmpswap_x2 v[10:11], v27, v[8:11], s[6:7] offset:24 glc
	s_waitcnt vmcnt(0)
	v_cmp_ne_u64_e32 vcc, v[10:11], v[12:13]
	s_and_b64 exec, exec, vcc
	s_cbranch_execz .LBB6_1571
; %bb.1658:                             ;   in Loop: Header=BB6_1572 Depth=1
	s_mov_b64 s[4:5], 0
.LBB6_1659:                             ;   Parent Loop BB6_1572 Depth=1
                                        ; =>  This Inner Loop Header: Depth=2
	s_sleep 1
	global_store_dwordx2 v[2:3], v[10:11], off
	buffer_wbl2
	s_waitcnt vmcnt(0)
	global_atomic_cmpswap_x2 v[12:13], v27, v[8:11], s[6:7] offset:24 glc
	s_waitcnt vmcnt(0)
	v_cmp_eq_u64_e32 vcc, v[12:13], v[10:11]
	s_or_b64 s[4:5], vcc, s[4:5]
	v_pk_mov_b32 v[10:11], v[12:13], v[12:13] op_sel:[0,1]
	s_andn2_b64 exec, exec, s[4:5]
	s_cbranch_execnz .LBB6_1659
	s_branch .LBB6_1571
.LBB6_1660:
	s_mov_b64 s[4:5], 0
	s_branch .LBB6_1662
.LBB6_1661:
	s_mov_b64 s[4:5], -1
.LBB6_1662:
	s_and_b64 vcc, exec, s[4:5]
	s_cbranch_vccz .LBB6_1689
; %bb.1663:
	v_readfirstlane_b32 s4, v31
	v_cmp_eq_u32_e64 s[4:5], s4, v31
	s_waitcnt vmcnt(0)
	v_pk_mov_b32 v[8:9], 0, 0
	s_and_saveexec_b64 s[8:9], s[4:5]
	s_cbranch_execz .LBB6_1669
; %bb.1664:
	v_mov_b32_e32 v2, 0
	global_load_dwordx2 v[6:7], v2, s[6:7] offset:24 glc
	s_waitcnt vmcnt(0)
	buffer_invl2
	buffer_wbinvl1_vol
	global_load_dwordx2 v[4:5], v2, s[6:7] offset:40
	global_load_dwordx2 v[8:9], v2, s[6:7]
	s_waitcnt vmcnt(1)
	v_and_b32_e32 v3, v4, v6
	v_and_b32_e32 v4, v5, v7
	v_mul_lo_u32 v4, v4, 24
	v_mul_hi_u32 v5, v3, 24
	v_mul_lo_u32 v3, v3, 24
	v_add_u32_e32 v5, v5, v4
	s_waitcnt vmcnt(0)
	v_add_co_u32_e32 v4, vcc, v8, v3
	v_addc_co_u32_e32 v5, vcc, v9, v5, vcc
	global_load_dwordx2 v[4:5], v[4:5], off glc
	s_waitcnt vmcnt(0)
	global_atomic_cmpswap_x2 v[8:9], v2, v[4:7], s[6:7] offset:24 glc
	s_waitcnt vmcnt(0)
	buffer_invl2
	buffer_wbinvl1_vol
	v_cmp_ne_u64_e32 vcc, v[8:9], v[6:7]
	s_and_saveexec_b64 s[10:11], vcc
	s_cbranch_execz .LBB6_1668
; %bb.1665:
	s_mov_b64 s[12:13], 0
.LBB6_1666:                             ; =>This Inner Loop Header: Depth=1
	s_sleep 1
	global_load_dwordx2 v[4:5], v2, s[6:7] offset:40
	global_load_dwordx2 v[10:11], v2, s[6:7]
	v_pk_mov_b32 v[6:7], v[8:9], v[8:9] op_sel:[0,1]
	s_waitcnt vmcnt(1)
	v_and_b32_e32 v4, v4, v6
	v_and_b32_e32 v3, v5, v7
	s_waitcnt vmcnt(0)
	v_mad_u64_u32 v[4:5], s[14:15], v4, 24, v[10:11]
	v_mov_b32_e32 v8, v5
	v_mad_u64_u32 v[8:9], s[14:15], v3, 24, v[8:9]
	v_mov_b32_e32 v5, v8
	global_load_dwordx2 v[4:5], v[4:5], off glc
	s_waitcnt vmcnt(0)
	global_atomic_cmpswap_x2 v[8:9], v2, v[4:7], s[6:7] offset:24 glc
	s_waitcnt vmcnt(0)
	buffer_invl2
	buffer_wbinvl1_vol
	v_cmp_eq_u64_e32 vcc, v[8:9], v[6:7]
	s_or_b64 s[12:13], vcc, s[12:13]
	s_andn2_b64 exec, exec, s[12:13]
	s_cbranch_execnz .LBB6_1666
; %bb.1667:
	s_or_b64 exec, exec, s[12:13]
.LBB6_1668:
	s_or_b64 exec, exec, s[10:11]
.LBB6_1669:
	s_or_b64 exec, exec, s[8:9]
	v_mov_b32_e32 v2, 0
	global_load_dwordx2 v[10:11], v2, s[6:7] offset:40
	global_load_dwordx4 v[4:7], v2, s[6:7]
	v_readfirstlane_b32 s8, v8
	v_readfirstlane_b32 s9, v9
	s_mov_b64 s[10:11], exec
	s_waitcnt vmcnt(1)
	v_readfirstlane_b32 s12, v10
	v_readfirstlane_b32 s13, v11
	s_and_b64 s[12:13], s[8:9], s[12:13]
	s_mul_i32 s14, s13, 24
	s_mul_hi_u32 s15, s12, 24
	s_mul_i32 s16, s12, 24
	s_add_i32 s14, s15, s14
	v_mov_b32_e32 v3, s14
	s_waitcnt vmcnt(0)
	v_add_co_u32_e32 v8, vcc, s16, v4
	v_addc_co_u32_e32 v9, vcc, v5, v3, vcc
	s_and_saveexec_b64 s[14:15], s[4:5]
	s_cbranch_execz .LBB6_1671
; %bb.1670:
	v_pk_mov_b32 v[10:11], s[10:11], s[10:11] op_sel:[0,1]
	v_mov_b32_e32 v12, 2
	v_mov_b32_e32 v13, 1
	global_store_dwordx4 v[8:9], v[10:13], off offset:8
.LBB6_1671:
	s_or_b64 exec, exec, s[14:15]
	s_lshl_b64 s[10:11], s[12:13], 12
	v_mov_b32_e32 v3, s11
	v_add_co_u32_e32 v6, vcc, s10, v6
	v_addc_co_u32_e32 v7, vcc, v7, v3, vcc
	s_movk_i32 s10, 0xff1d
	s_mov_b32 s12, 0
	v_and_or_b32 v0, v0, s10, 34
	v_mov_b32_e32 v3, v2
	v_readfirstlane_b32 s10, v6
	v_readfirstlane_b32 s11, v7
	s_mov_b32 s13, s12
	s_mov_b32 s14, s12
	;; [unrolled: 1-line block ×3, first 2 shown]
	s_nop 1
	global_store_dwordx4 v30, v[0:3], s[10:11]
	s_nop 0
	v_pk_mov_b32 v[0:1], s[12:13], s[12:13] op_sel:[0,1]
	v_pk_mov_b32 v[2:3], s[14:15], s[14:15] op_sel:[0,1]
	global_store_dwordx4 v30, v[0:3], s[10:11] offset:16
	global_store_dwordx4 v30, v[0:3], s[10:11] offset:32
	;; [unrolled: 1-line block ×3, first 2 shown]
	s_and_saveexec_b64 s[10:11], s[4:5]
	s_cbranch_execz .LBB6_1679
; %bb.1672:
	v_mov_b32_e32 v6, 0
	global_load_dwordx2 v[12:13], v6, s[6:7] offset:32 glc
	global_load_dwordx2 v[0:1], v6, s[6:7] offset:40
	v_mov_b32_e32 v10, s8
	v_mov_b32_e32 v11, s9
	s_waitcnt vmcnt(0)
	v_readfirstlane_b32 s12, v0
	v_readfirstlane_b32 s13, v1
	s_and_b64 s[12:13], s[12:13], s[8:9]
	s_mul_i32 s13, s13, 24
	s_mul_hi_u32 s14, s12, 24
	s_mul_i32 s12, s12, 24
	s_add_i32 s13, s14, s13
	v_mov_b32_e32 v0, s13
	v_add_co_u32_e32 v4, vcc, s12, v4
	v_addc_co_u32_e32 v5, vcc, v5, v0, vcc
	global_store_dwordx2 v[4:5], v[12:13], off
	buffer_wbl2
	s_waitcnt vmcnt(0)
	global_atomic_cmpswap_x2 v[2:3], v6, v[10:13], s[6:7] offset:32 glc
	s_waitcnt vmcnt(0)
	v_cmp_ne_u64_e32 vcc, v[2:3], v[12:13]
	s_and_saveexec_b64 s[12:13], vcc
	s_cbranch_execz .LBB6_1675
; %bb.1673:
	s_mov_b64 s[14:15], 0
.LBB6_1674:                             ; =>This Inner Loop Header: Depth=1
	s_sleep 1
	global_store_dwordx2 v[4:5], v[2:3], off
	v_mov_b32_e32 v0, s8
	v_mov_b32_e32 v1, s9
	buffer_wbl2
	s_waitcnt vmcnt(0)
	global_atomic_cmpswap_x2 v[0:1], v6, v[0:3], s[6:7] offset:32 glc
	s_waitcnt vmcnt(0)
	v_cmp_eq_u64_e32 vcc, v[0:1], v[2:3]
	s_or_b64 s[14:15], vcc, s[14:15]
	v_pk_mov_b32 v[2:3], v[0:1], v[0:1] op_sel:[0,1]
	s_andn2_b64 exec, exec, s[14:15]
	s_cbranch_execnz .LBB6_1674
.LBB6_1675:
	s_or_b64 exec, exec, s[12:13]
	v_mov_b32_e32 v3, 0
	global_load_dwordx2 v[0:1], v3, s[6:7] offset:16
	s_mov_b64 s[12:13], exec
	v_mbcnt_lo_u32_b32 v2, s12, 0
	v_mbcnt_hi_u32_b32 v2, s13, v2
	v_cmp_eq_u32_e32 vcc, 0, v2
	s_and_saveexec_b64 s[14:15], vcc
	s_cbranch_execz .LBB6_1677
; %bb.1676:
	s_bcnt1_i32_b64 s12, s[12:13]
	v_mov_b32_e32 v2, s12
	buffer_wbl2
	s_waitcnt vmcnt(0)
	global_atomic_add_x2 v[0:1], v[2:3], off offset:8
.LBB6_1677:
	s_or_b64 exec, exec, s[14:15]
	s_waitcnt vmcnt(0)
	global_load_dwordx2 v[2:3], v[0:1], off offset:16
	s_waitcnt vmcnt(0)
	v_cmp_eq_u64_e32 vcc, 0, v[2:3]
	s_cbranch_vccnz .LBB6_1679
; %bb.1678:
	global_load_dword v0, v[0:1], off offset:24
	v_mov_b32_e32 v1, 0
	buffer_wbl2
	s_waitcnt vmcnt(0)
	global_store_dwordx2 v[2:3], v[0:1], off
	v_and_b32_e32 v0, 0xffffff, v0
	v_readfirstlane_b32 m0, v0
	s_sendmsg sendmsg(MSG_INTERRUPT)
.LBB6_1679:
	s_or_b64 exec, exec, s[10:11]
	s_branch .LBB6_1681
.LBB6_1680:
	s_branch .LBB6_1685
.LBB6_1681:                             ; =>This Inner Loop Header: Depth=1
	v_mov_b32_e32 v0, 1
	s_and_saveexec_b64 s[10:11], s[4:5]
	s_cbranch_execz .LBB6_1683
; %bb.1682:                             ;   in Loop: Header=BB6_1681 Depth=1
	global_load_dword v0, v[8:9], off offset:20 glc
	s_waitcnt vmcnt(0)
	buffer_invl2
	buffer_wbinvl1_vol
	v_and_b32_e32 v0, 1, v0
.LBB6_1683:                             ;   in Loop: Header=BB6_1681 Depth=1
	s_or_b64 exec, exec, s[10:11]
	v_readfirstlane_b32 s10, v0
	s_cmp_eq_u32 s10, 0
	s_cbranch_scc1 .LBB6_1680
; %bb.1684:                             ;   in Loop: Header=BB6_1681 Depth=1
	s_sleep 1
	s_cbranch_execnz .LBB6_1681
.LBB6_1685:
	s_and_saveexec_b64 s[10:11], s[4:5]
	s_cbranch_execz .LBB6_1688
; %bb.1686:
	v_mov_b32_e32 v6, 0
	global_load_dwordx2 v[4:5], v6, s[6:7] offset:40
	global_load_dwordx2 v[8:9], v6, s[6:7] offset:24 glc
	global_load_dwordx2 v[10:11], v6, s[6:7]
	v_mov_b32_e32 v1, s9
	s_mov_b64 s[4:5], 0
	s_waitcnt vmcnt(2)
	v_add_co_u32_e32 v3, vcc, 1, v4
	v_addc_co_u32_e32 v7, vcc, 0, v5, vcc
	v_add_co_u32_e32 v0, vcc, s8, v3
	v_addc_co_u32_e32 v1, vcc, v7, v1, vcc
	v_cmp_eq_u64_e32 vcc, 0, v[0:1]
	v_cndmask_b32_e32 v1, v1, v7, vcc
	v_cndmask_b32_e32 v0, v0, v3, vcc
	v_and_b32_e32 v3, v1, v5
	v_and_b32_e32 v4, v0, v4
	v_mul_lo_u32 v3, v3, 24
	v_mul_hi_u32 v5, v4, 24
	v_mul_lo_u32 v4, v4, 24
	v_add_u32_e32 v3, v5, v3
	s_waitcnt vmcnt(0)
	v_add_co_u32_e32 v4, vcc, v10, v4
	v_addc_co_u32_e32 v5, vcc, v11, v3, vcc
	v_mov_b32_e32 v2, v8
	global_store_dwordx2 v[4:5], v[8:9], off
	v_mov_b32_e32 v3, v9
	buffer_wbl2
	s_waitcnt vmcnt(0)
	global_atomic_cmpswap_x2 v[2:3], v6, v[0:3], s[6:7] offset:24 glc
	s_waitcnt vmcnt(0)
	v_cmp_ne_u64_e32 vcc, v[2:3], v[8:9]
	s_and_b64 exec, exec, vcc
	s_cbranch_execz .LBB6_1688
.LBB6_1687:                             ; =>This Inner Loop Header: Depth=1
	s_sleep 1
	global_store_dwordx2 v[4:5], v[2:3], off
	buffer_wbl2
	s_waitcnt vmcnt(0)
	global_atomic_cmpswap_x2 v[8:9], v6, v[0:3], s[6:7] offset:24 glc
	s_waitcnt vmcnt(0)
	v_cmp_eq_u64_e32 vcc, v[8:9], v[2:3]
	s_or_b64 s[4:5], vcc, s[4:5]
	v_pk_mov_b32 v[2:3], v[8:9], v[8:9] op_sel:[0,1]
	s_andn2_b64 exec, exec, s[4:5]
	s_cbranch_execnz .LBB6_1687
.LBB6_1688:
	s_or_b64 exec, exec, s[10:11]
.LBB6_1689:
	s_getpc_b64 s[4:5]
	s_add_u32 s4, s4, .str.29@rel32@lo+4
	s_addc_u32 s5, s5, .str.29@rel32@hi+12
	s_getpc_b64 s[6:7]
	s_add_u32 s6, s6, .str.19@rel32@lo+4
	s_addc_u32 s7, s7, .str.19@rel32@hi+12
	s_getpc_b64 s[10:11]
	s_add_u32 s10, s10, __PRETTY_FUNCTION__._ZN7VecsMemIjLi8192EE5fetchEi@rel32@lo+4
	s_addc_u32 s11, s11, __PRETTY_FUNCTION__._ZN7VecsMemIjLi8192EE5fetchEi@rel32@hi+12
	s_mov_b64 s[8:9], s[48:49]
	s_waitcnt vmcnt(0)
	v_mov_b32_e32 v0, s4
	v_mov_b32_e32 v1, s5
	;; [unrolled: 1-line block ×7, first 2 shown]
	s_getpc_b64 s[12:13]
	s_add_u32 s12, s12, __assert_fail@rel32@lo+4
	s_addc_u32 s13, s13, __assert_fail@rel32@hi+12
	s_swappc_b64 s[30:31], s[12:13]
	s_or_b64 s[68:69], s[68:69], exec
                                        ; implicit-def: $vgpr40
.LBB6_1690:
	s_or_b64 exec, exec, s[26:27]
	s_andn2_b64 s[4:5], s[64:65], exec
	s_and_b64 s[6:7], s[68:69], exec
	s_or_b64 s[64:65], s[4:5], s[6:7]
.LBB6_1691:
	s_or_b64 exec, exec, s[88:89]
	s_andn2_b64 s[4:5], s[58:59], exec
	s_and_b64 s[6:7], s[64:65], exec
	s_or_b64 s[58:59], s[4:5], s[6:7]
.LBB6_1692:
	s_or_b64 exec, exec, s[62:63]
	s_and_saveexec_b64 s[4:5], s[56:57]
	s_xor_b64 s[26:27], exec, s[4:5]
	s_cbranch_execz .LBB6_1832
; %bb.1693:
	s_load_dwordx2 s[6:7], s[48:49], 0x50
	v_mbcnt_lo_u32_b32 v0, -1, 0
	v_mbcnt_hi_u32_b32 v31, -1, v0
	v_readfirstlane_b32 s4, v31
	v_cmp_eq_u32_e64 s[4:5], s4, v31
	v_pk_mov_b32 v[6:7], 0, 0
	s_and_saveexec_b64 s[8:9], s[4:5]
	s_cbranch_execz .LBB6_1699
; %bb.1694:
	v_mov_b32_e32 v0, 0
	s_waitcnt lgkmcnt(0)
	global_load_dwordx2 v[4:5], v0, s[6:7] offset:24 glc
	s_waitcnt vmcnt(0)
	buffer_invl2
	buffer_wbinvl1_vol
	global_load_dwordx2 v[2:3], v0, s[6:7] offset:40
	global_load_dwordx2 v[6:7], v0, s[6:7]
	s_waitcnt vmcnt(1)
	v_and_b32_e32 v1, v2, v4
	v_and_b32_e32 v2, v3, v5
	v_mul_lo_u32 v2, v2, 24
	v_mul_hi_u32 v3, v1, 24
	v_mul_lo_u32 v1, v1, 24
	v_add_u32_e32 v3, v3, v2
	s_waitcnt vmcnt(0)
	v_add_co_u32_e32 v2, vcc, v6, v1
	v_addc_co_u32_e32 v3, vcc, v7, v3, vcc
	global_load_dwordx2 v[2:3], v[2:3], off glc
	s_waitcnt vmcnt(0)
	global_atomic_cmpswap_x2 v[6:7], v0, v[2:5], s[6:7] offset:24 glc
	s_waitcnt vmcnt(0)
	buffer_invl2
	buffer_wbinvl1_vol
	v_cmp_ne_u64_e32 vcc, v[6:7], v[4:5]
	s_and_saveexec_b64 s[10:11], vcc
	s_cbranch_execz .LBB6_1698
; %bb.1695:
	s_mov_b64 s[12:13], 0
.LBB6_1696:                             ; =>This Inner Loop Header: Depth=1
	s_sleep 1
	global_load_dwordx2 v[2:3], v0, s[6:7] offset:40
	global_load_dwordx2 v[8:9], v0, s[6:7]
	v_pk_mov_b32 v[4:5], v[6:7], v[6:7] op_sel:[0,1]
	s_waitcnt vmcnt(1)
	v_and_b32_e32 v2, v2, v4
	v_and_b32_e32 v1, v3, v5
	s_waitcnt vmcnt(0)
	v_mad_u64_u32 v[2:3], s[14:15], v2, 24, v[8:9]
	v_mov_b32_e32 v6, v3
	v_mad_u64_u32 v[6:7], s[14:15], v1, 24, v[6:7]
	v_mov_b32_e32 v3, v6
	global_load_dwordx2 v[2:3], v[2:3], off glc
	s_waitcnt vmcnt(0)
	global_atomic_cmpswap_x2 v[6:7], v0, v[2:5], s[6:7] offset:24 glc
	s_waitcnt vmcnt(0)
	buffer_invl2
	buffer_wbinvl1_vol
	v_cmp_eq_u64_e32 vcc, v[6:7], v[4:5]
	s_or_b64 s[12:13], vcc, s[12:13]
	s_andn2_b64 exec, exec, s[12:13]
	s_cbranch_execnz .LBB6_1696
; %bb.1697:
	s_or_b64 exec, exec, s[12:13]
.LBB6_1698:
	s_or_b64 exec, exec, s[10:11]
.LBB6_1699:
	s_or_b64 exec, exec, s[8:9]
	v_mov_b32_e32 v5, 0
	s_waitcnt lgkmcnt(0)
	global_load_dwordx2 v[8:9], v5, s[6:7] offset:40
	global_load_dwordx4 v[0:3], v5, s[6:7]
	v_readfirstlane_b32 s8, v6
	v_readfirstlane_b32 s9, v7
	s_mov_b64 s[10:11], exec
	s_waitcnt vmcnt(0)
	v_readfirstlane_b32 s12, v8
	v_readfirstlane_b32 s13, v9
	s_and_b64 s[12:13], s[8:9], s[12:13]
	s_mul_i32 s14, s13, 24
	s_mul_hi_u32 s15, s12, 24
	s_mul_i32 s16, s12, 24
	s_add_i32 s14, s15, s14
	v_mov_b32_e32 v4, s14
	v_add_co_u32_e32 v8, vcc, s16, v0
	v_addc_co_u32_e32 v9, vcc, v1, v4, vcc
	s_and_saveexec_b64 s[14:15], s[4:5]
	s_cbranch_execz .LBB6_1701
; %bb.1700:
	v_pk_mov_b32 v[10:11], s[10:11], s[10:11] op_sel:[0,1]
	v_mov_b32_e32 v12, 2
	v_mov_b32_e32 v13, 1
	global_store_dwordx4 v[8:9], v[10:13], off offset:8
.LBB6_1701:
	s_or_b64 exec, exec, s[14:15]
	s_lshl_b64 s[10:11], s[12:13], 12
	v_mov_b32_e32 v4, s11
	v_add_co_u32_e32 v2, vcc, s10, v2
	v_addc_co_u32_e32 v3, vcc, v3, v4, vcc
	s_mov_b32 s12, 0
	v_lshlrev_b32_e32 v30, 6, v31
	v_add_co_u32_e32 v10, vcc, v2, v30
	v_mov_b32_e32 v4, 33
	v_mov_b32_e32 v6, v5
	;; [unrolled: 1-line block ×3, first 2 shown]
	v_readfirstlane_b32 s10, v2
	v_readfirstlane_b32 s11, v3
	s_mov_b32 s13, s12
	v_addc_co_u32_e32 v11, vcc, 0, v3, vcc
	s_mov_b32 s14, s12
	s_mov_b32 s15, s12
	s_nop 0
	global_store_dwordx4 v30, v[4:7], s[10:11]
	v_pk_mov_b32 v[2:3], s[12:13], s[12:13] op_sel:[0,1]
	v_pk_mov_b32 v[4:5], s[14:15], s[14:15] op_sel:[0,1]
	global_store_dwordx4 v30, v[2:5], s[10:11] offset:16
	global_store_dwordx4 v30, v[2:5], s[10:11] offset:32
	global_store_dwordx4 v30, v[2:5], s[10:11] offset:48
	s_and_saveexec_b64 s[10:11], s[4:5]
	s_cbranch_execz .LBB6_1709
; %bb.1702:
	v_mov_b32_e32 v6, 0
	global_load_dwordx2 v[14:15], v6, s[6:7] offset:32 glc
	global_load_dwordx2 v[2:3], v6, s[6:7] offset:40
	v_mov_b32_e32 v12, s8
	v_mov_b32_e32 v13, s9
	s_waitcnt vmcnt(0)
	v_and_b32_e32 v2, s8, v2
	v_and_b32_e32 v3, s9, v3
	v_mul_lo_u32 v3, v3, 24
	v_mul_hi_u32 v4, v2, 24
	v_mul_lo_u32 v2, v2, 24
	v_add_u32_e32 v3, v4, v3
	v_add_co_u32_e32 v4, vcc, v0, v2
	v_addc_co_u32_e32 v5, vcc, v1, v3, vcc
	global_store_dwordx2 v[4:5], v[14:15], off
	buffer_wbl2
	s_waitcnt vmcnt(0)
	global_atomic_cmpswap_x2 v[2:3], v6, v[12:15], s[6:7] offset:32 glc
	s_waitcnt vmcnt(0)
	v_cmp_ne_u64_e32 vcc, v[2:3], v[14:15]
	s_and_saveexec_b64 s[12:13], vcc
	s_cbranch_execz .LBB6_1705
; %bb.1703:
	s_mov_b64 s[14:15], 0
.LBB6_1704:                             ; =>This Inner Loop Header: Depth=1
	s_sleep 1
	global_store_dwordx2 v[4:5], v[2:3], off
	v_mov_b32_e32 v0, s8
	v_mov_b32_e32 v1, s9
	buffer_wbl2
	s_waitcnt vmcnt(0)
	global_atomic_cmpswap_x2 v[0:1], v6, v[0:3], s[6:7] offset:32 glc
	s_waitcnt vmcnt(0)
	v_cmp_eq_u64_e32 vcc, v[0:1], v[2:3]
	s_or_b64 s[14:15], vcc, s[14:15]
	v_pk_mov_b32 v[2:3], v[0:1], v[0:1] op_sel:[0,1]
	s_andn2_b64 exec, exec, s[14:15]
	s_cbranch_execnz .LBB6_1704
.LBB6_1705:
	s_or_b64 exec, exec, s[12:13]
	v_mov_b32_e32 v3, 0
	global_load_dwordx2 v[0:1], v3, s[6:7] offset:16
	s_mov_b64 s[12:13], exec
	v_mbcnt_lo_u32_b32 v2, s12, 0
	v_mbcnt_hi_u32_b32 v2, s13, v2
	v_cmp_eq_u32_e32 vcc, 0, v2
	s_and_saveexec_b64 s[14:15], vcc
	s_cbranch_execz .LBB6_1707
; %bb.1706:
	s_bcnt1_i32_b64 s12, s[12:13]
	v_mov_b32_e32 v2, s12
	buffer_wbl2
	s_waitcnt vmcnt(0)
	global_atomic_add_x2 v[0:1], v[2:3], off offset:8
.LBB6_1707:
	s_or_b64 exec, exec, s[14:15]
	s_waitcnt vmcnt(0)
	global_load_dwordx2 v[2:3], v[0:1], off offset:16
	s_waitcnt vmcnt(0)
	v_cmp_eq_u64_e32 vcc, 0, v[2:3]
	s_cbranch_vccnz .LBB6_1709
; %bb.1708:
	global_load_dword v0, v[0:1], off offset:24
	v_mov_b32_e32 v1, 0
	buffer_wbl2
	s_waitcnt vmcnt(0)
	global_store_dwordx2 v[2:3], v[0:1], off
	v_and_b32_e32 v0, 0xffffff, v0
	v_readfirstlane_b32 m0, v0
	s_sendmsg sendmsg(MSG_INTERRUPT)
.LBB6_1709:
	s_or_b64 exec, exec, s[10:11]
	s_branch .LBB6_1711
.LBB6_1710:
	s_branch .LBB6_1715
.LBB6_1711:                             ; =>This Inner Loop Header: Depth=1
	v_mov_b32_e32 v0, 1
	s_and_saveexec_b64 s[10:11], s[4:5]
	s_cbranch_execz .LBB6_1713
; %bb.1712:                             ;   in Loop: Header=BB6_1711 Depth=1
	global_load_dword v0, v[8:9], off offset:20 glc
	s_waitcnt vmcnt(0)
	buffer_invl2
	buffer_wbinvl1_vol
	v_and_b32_e32 v0, 1, v0
.LBB6_1713:                             ;   in Loop: Header=BB6_1711 Depth=1
	s_or_b64 exec, exec, s[10:11]
	v_readfirstlane_b32 s10, v0
	s_cmp_eq_u32 s10, 0
	s_cbranch_scc1 .LBB6_1710
; %bb.1714:                             ;   in Loop: Header=BB6_1711 Depth=1
	s_sleep 1
	s_cbranch_execnz .LBB6_1711
.LBB6_1715:
	global_load_dwordx2 v[0:1], v[10:11], off
	s_and_saveexec_b64 s[10:11], s[4:5]
	s_cbranch_execz .LBB6_1718
; %bb.1716:
	v_mov_b32_e32 v8, 0
	global_load_dwordx2 v[6:7], v8, s[6:7] offset:40
	global_load_dwordx2 v[10:11], v8, s[6:7] offset:24 glc
	global_load_dwordx2 v[12:13], v8, s[6:7]
	v_mov_b32_e32 v3, s9
	s_mov_b64 s[4:5], 0
	s_waitcnt vmcnt(2)
	v_add_co_u32_e32 v5, vcc, 1, v6
	v_addc_co_u32_e32 v9, vcc, 0, v7, vcc
	v_add_co_u32_e32 v2, vcc, s8, v5
	v_addc_co_u32_e32 v3, vcc, v9, v3, vcc
	v_cmp_eq_u64_e32 vcc, 0, v[2:3]
	v_cndmask_b32_e32 v3, v3, v9, vcc
	v_cndmask_b32_e32 v2, v2, v5, vcc
	v_and_b32_e32 v5, v3, v7
	v_and_b32_e32 v6, v2, v6
	v_mul_lo_u32 v5, v5, 24
	v_mul_hi_u32 v7, v6, 24
	v_mul_lo_u32 v6, v6, 24
	v_add_u32_e32 v5, v7, v5
	s_waitcnt vmcnt(0)
	v_add_co_u32_e32 v6, vcc, v12, v6
	v_addc_co_u32_e32 v7, vcc, v13, v5, vcc
	v_mov_b32_e32 v4, v10
	global_store_dwordx2 v[6:7], v[10:11], off
	v_mov_b32_e32 v5, v11
	buffer_wbl2
	s_waitcnt vmcnt(0)
	global_atomic_cmpswap_x2 v[4:5], v8, v[2:5], s[6:7] offset:24 glc
	s_waitcnt vmcnt(0)
	v_cmp_ne_u64_e32 vcc, v[4:5], v[10:11]
	s_and_b64 exec, exec, vcc
	s_cbranch_execz .LBB6_1718
.LBB6_1717:                             ; =>This Inner Loop Header: Depth=1
	s_sleep 1
	global_store_dwordx2 v[6:7], v[4:5], off
	buffer_wbl2
	s_waitcnt vmcnt(0)
	global_atomic_cmpswap_x2 v[10:11], v8, v[2:5], s[6:7] offset:24 glc
	s_waitcnt vmcnt(0)
	v_cmp_eq_u64_e32 vcc, v[10:11], v[4:5]
	s_or_b64 s[4:5], vcc, s[4:5]
	v_pk_mov_b32 v[4:5], v[10:11], v[10:11] op_sel:[0,1]
	s_andn2_b64 exec, exec, s[4:5]
	s_cbranch_execnz .LBB6_1717
.LBB6_1718:
	s_or_b64 exec, exec, s[10:11]
	s_getpc_b64 s[8:9]
	s_add_u32 s8, s8, .str.28@rel32@lo+4
	s_addc_u32 s9, s9, .str.28@rel32@hi+12
	s_cmp_lg_u64 s[8:9], 0
	s_cbranch_scc0 .LBB6_1803
; %bb.1719:
	s_waitcnt vmcnt(0)
	v_and_b32_e32 v6, -3, v0
	v_mov_b32_e32 v7, v1
	s_mov_b64 s[10:11], 35
	v_mov_b32_e32 v27, 0
	v_mov_b32_e32 v4, 2
	;; [unrolled: 1-line block ×3, first 2 shown]
	s_branch .LBB6_1721
.LBB6_1720:                             ;   in Loop: Header=BB6_1721 Depth=1
	s_or_b64 exec, exec, s[16:17]
	s_sub_u32 s10, s10, s12
	s_subb_u32 s11, s11, s13
	s_add_u32 s8, s8, s12
	s_addc_u32 s9, s9, s13
	s_cmp_lg_u64 s[10:11], 0
	s_cbranch_scc0 .LBB6_1802
.LBB6_1721:                             ; =>This Loop Header: Depth=1
                                        ;     Child Loop BB6_1724 Depth 2
                                        ;     Child Loop BB6_1731 Depth 2
	;; [unrolled: 1-line block ×11, first 2 shown]
	v_cmp_lt_u64_e64 s[4:5], s[10:11], 56
	s_and_b64 s[4:5], s[4:5], exec
	v_cmp_gt_u64_e64 s[4:5], s[10:11], 7
	s_cselect_b32 s13, s11, 0
	s_cselect_b32 s12, s10, 56
	s_and_b64 vcc, exec, s[4:5]
	s_cbranch_vccnz .LBB6_1726
; %bb.1722:                             ;   in Loop: Header=BB6_1721 Depth=1
	s_mov_b64 s[4:5], 0
	s_cmp_eq_u64 s[10:11], 0
	s_waitcnt vmcnt(0)
	v_pk_mov_b32 v[8:9], 0, 0
	s_cbranch_scc1 .LBB6_1725
; %bb.1723:                             ;   in Loop: Header=BB6_1721 Depth=1
	s_lshl_b64 s[14:15], s[12:13], 3
	s_mov_b64 s[16:17], 0
	v_pk_mov_b32 v[8:9], 0, 0
	s_mov_b64 s[18:19], s[8:9]
.LBB6_1724:                             ;   Parent Loop BB6_1721 Depth=1
                                        ; =>  This Inner Loop Header: Depth=2
	global_load_ubyte v2, v27, s[18:19]
	s_waitcnt vmcnt(0)
	v_and_b32_e32 v26, 0xffff, v2
	v_lshlrev_b64 v[2:3], s16, v[26:27]
	s_add_u32 s16, s16, 8
	s_addc_u32 s17, s17, 0
	s_add_u32 s18, s18, 1
	s_addc_u32 s19, s19, 0
	v_or_b32_e32 v8, v2, v8
	s_cmp_lg_u32 s14, s16
	v_or_b32_e32 v9, v3, v9
	s_cbranch_scc1 .LBB6_1724
.LBB6_1725:                             ;   in Loop: Header=BB6_1721 Depth=1
	s_mov_b32 s18, 0
	s_andn2_b64 vcc, exec, s[4:5]
	s_mov_b64 s[4:5], s[8:9]
	s_cbranch_vccz .LBB6_1727
	s_branch .LBB6_1728
.LBB6_1726:                             ;   in Loop: Header=BB6_1721 Depth=1
                                        ; implicit-def: $sgpr18
	s_mov_b64 s[4:5], s[8:9]
.LBB6_1727:                             ;   in Loop: Header=BB6_1721 Depth=1
	global_load_dwordx2 v[8:9], v27, s[8:9]
	s_add_i32 s18, s12, -8
	s_add_u32 s4, s8, 8
	s_addc_u32 s5, s9, 0
.LBB6_1728:                             ;   in Loop: Header=BB6_1721 Depth=1
	s_cmp_gt_u32 s18, 7
	s_cbranch_scc1 .LBB6_1790
; %bb.1729:                             ;   in Loop: Header=BB6_1721 Depth=1
	s_cmp_eq_u32 s18, 0
	s_cbranch_scc1 .LBB6_1796
; %bb.1730:                             ;   in Loop: Header=BB6_1721 Depth=1
	s_mov_b64 s[14:15], 0
	v_pk_mov_b32 v[10:11], 0, 0
	s_mov_b64 s[16:17], 0
.LBB6_1731:                             ;   Parent Loop BB6_1721 Depth=1
                                        ; =>  This Inner Loop Header: Depth=2
	s_add_u32 s20, s4, s16
	s_addc_u32 s21, s5, s17
	global_load_ubyte v2, v27, s[20:21]
	s_add_u32 s16, s16, 1
	s_addc_u32 s17, s17, 0
	s_waitcnt vmcnt(0)
	v_and_b32_e32 v26, 0xffff, v2
	v_lshlrev_b64 v[2:3], s14, v[26:27]
	s_add_u32 s14, s14, 8
	s_addc_u32 s15, s15, 0
	v_or_b32_e32 v10, v2, v10
	s_cmp_lg_u32 s18, s16
	v_or_b32_e32 v11, v3, v11
	s_cbranch_scc1 .LBB6_1731
; %bb.1732:                             ;   in Loop: Header=BB6_1721 Depth=1
	s_mov_b32 s19, 0
	s_cbranch_execnz .LBB6_1734
.LBB6_1733:                             ;   in Loop: Header=BB6_1721 Depth=1
	global_load_dwordx2 v[10:11], v27, s[4:5]
	s_add_i32 s19, s18, -8
	s_add_u32 s4, s4, 8
	s_addc_u32 s5, s5, 0
.LBB6_1734:                             ;   in Loop: Header=BB6_1721 Depth=1
	s_cmp_gt_u32 s19, 7
	s_cbranch_scc1 .LBB6_1791
; %bb.1735:                             ;   in Loop: Header=BB6_1721 Depth=1
	s_cmp_eq_u32 s19, 0
	s_cbranch_scc1 .LBB6_1797
; %bb.1736:                             ;   in Loop: Header=BB6_1721 Depth=1
	s_mov_b64 s[14:15], 0
	v_pk_mov_b32 v[12:13], 0, 0
	s_mov_b64 s[16:17], 0
.LBB6_1737:                             ;   Parent Loop BB6_1721 Depth=1
                                        ; =>  This Inner Loop Header: Depth=2
	s_add_u32 s20, s4, s16
	s_addc_u32 s21, s5, s17
	global_load_ubyte v2, v27, s[20:21]
	s_add_u32 s16, s16, 1
	s_addc_u32 s17, s17, 0
	s_waitcnt vmcnt(0)
	v_and_b32_e32 v26, 0xffff, v2
	v_lshlrev_b64 v[2:3], s14, v[26:27]
	s_add_u32 s14, s14, 8
	s_addc_u32 s15, s15, 0
	v_or_b32_e32 v12, v2, v12
	s_cmp_lg_u32 s19, s16
	v_or_b32_e32 v13, v3, v13
	s_cbranch_scc1 .LBB6_1737
; %bb.1738:                             ;   in Loop: Header=BB6_1721 Depth=1
	s_mov_b32 s18, 0
	s_cbranch_execnz .LBB6_1740
.LBB6_1739:                             ;   in Loop: Header=BB6_1721 Depth=1
	global_load_dwordx2 v[12:13], v27, s[4:5]
	s_add_i32 s18, s19, -8
	s_add_u32 s4, s4, 8
	s_addc_u32 s5, s5, 0
.LBB6_1740:                             ;   in Loop: Header=BB6_1721 Depth=1
	s_cmp_gt_u32 s18, 7
	s_cbranch_scc1 .LBB6_1792
; %bb.1741:                             ;   in Loop: Header=BB6_1721 Depth=1
	s_cmp_eq_u32 s18, 0
	s_cbranch_scc1 .LBB6_1798
; %bb.1742:                             ;   in Loop: Header=BB6_1721 Depth=1
	s_mov_b64 s[14:15], 0
	v_pk_mov_b32 v[14:15], 0, 0
	s_mov_b64 s[16:17], 0
.LBB6_1743:                             ;   Parent Loop BB6_1721 Depth=1
                                        ; =>  This Inner Loop Header: Depth=2
	s_add_u32 s20, s4, s16
	s_addc_u32 s21, s5, s17
	global_load_ubyte v2, v27, s[20:21]
	s_add_u32 s16, s16, 1
	s_addc_u32 s17, s17, 0
	s_waitcnt vmcnt(0)
	v_and_b32_e32 v26, 0xffff, v2
	v_lshlrev_b64 v[2:3], s14, v[26:27]
	s_add_u32 s14, s14, 8
	s_addc_u32 s15, s15, 0
	v_or_b32_e32 v14, v2, v14
	s_cmp_lg_u32 s18, s16
	v_or_b32_e32 v15, v3, v15
	s_cbranch_scc1 .LBB6_1743
; %bb.1744:                             ;   in Loop: Header=BB6_1721 Depth=1
	s_mov_b32 s19, 0
	s_cbranch_execnz .LBB6_1746
.LBB6_1745:                             ;   in Loop: Header=BB6_1721 Depth=1
	global_load_dwordx2 v[14:15], v27, s[4:5]
	s_add_i32 s19, s18, -8
	s_add_u32 s4, s4, 8
	s_addc_u32 s5, s5, 0
.LBB6_1746:                             ;   in Loop: Header=BB6_1721 Depth=1
	s_cmp_gt_u32 s19, 7
	s_cbranch_scc1 .LBB6_1793
; %bb.1747:                             ;   in Loop: Header=BB6_1721 Depth=1
	s_cmp_eq_u32 s19, 0
	s_cbranch_scc1 .LBB6_1799
; %bb.1748:                             ;   in Loop: Header=BB6_1721 Depth=1
	s_mov_b64 s[14:15], 0
	v_pk_mov_b32 v[16:17], 0, 0
	s_mov_b64 s[16:17], 0
.LBB6_1749:                             ;   Parent Loop BB6_1721 Depth=1
                                        ; =>  This Inner Loop Header: Depth=2
	s_add_u32 s20, s4, s16
	s_addc_u32 s21, s5, s17
	global_load_ubyte v2, v27, s[20:21]
	s_add_u32 s16, s16, 1
	s_addc_u32 s17, s17, 0
	s_waitcnt vmcnt(0)
	v_and_b32_e32 v26, 0xffff, v2
	v_lshlrev_b64 v[2:3], s14, v[26:27]
	s_add_u32 s14, s14, 8
	s_addc_u32 s15, s15, 0
	v_or_b32_e32 v16, v2, v16
	s_cmp_lg_u32 s19, s16
	v_or_b32_e32 v17, v3, v17
	s_cbranch_scc1 .LBB6_1749
; %bb.1750:                             ;   in Loop: Header=BB6_1721 Depth=1
	s_mov_b32 s18, 0
	s_cbranch_execnz .LBB6_1752
.LBB6_1751:                             ;   in Loop: Header=BB6_1721 Depth=1
	global_load_dwordx2 v[16:17], v27, s[4:5]
	s_add_i32 s18, s19, -8
	s_add_u32 s4, s4, 8
	s_addc_u32 s5, s5, 0
.LBB6_1752:                             ;   in Loop: Header=BB6_1721 Depth=1
	s_cmp_gt_u32 s18, 7
	s_cbranch_scc1 .LBB6_1794
; %bb.1753:                             ;   in Loop: Header=BB6_1721 Depth=1
	s_cmp_eq_u32 s18, 0
	s_cbranch_scc1 .LBB6_1800
; %bb.1754:                             ;   in Loop: Header=BB6_1721 Depth=1
	s_mov_b64 s[14:15], 0
	v_pk_mov_b32 v[18:19], 0, 0
	s_mov_b64 s[16:17], 0
.LBB6_1755:                             ;   Parent Loop BB6_1721 Depth=1
                                        ; =>  This Inner Loop Header: Depth=2
	s_add_u32 s20, s4, s16
	s_addc_u32 s21, s5, s17
	global_load_ubyte v2, v27, s[20:21]
	s_add_u32 s16, s16, 1
	s_addc_u32 s17, s17, 0
	s_waitcnt vmcnt(0)
	v_and_b32_e32 v26, 0xffff, v2
	v_lshlrev_b64 v[2:3], s14, v[26:27]
	s_add_u32 s14, s14, 8
	s_addc_u32 s15, s15, 0
	v_or_b32_e32 v18, v2, v18
	s_cmp_lg_u32 s18, s16
	v_or_b32_e32 v19, v3, v19
	s_cbranch_scc1 .LBB6_1755
; %bb.1756:                             ;   in Loop: Header=BB6_1721 Depth=1
	s_mov_b32 s19, 0
	s_cbranch_execnz .LBB6_1758
.LBB6_1757:                             ;   in Loop: Header=BB6_1721 Depth=1
	global_load_dwordx2 v[18:19], v27, s[4:5]
	s_add_i32 s19, s18, -8
	s_add_u32 s4, s4, 8
	s_addc_u32 s5, s5, 0
.LBB6_1758:                             ;   in Loop: Header=BB6_1721 Depth=1
	s_cmp_gt_u32 s19, 7
	s_cbranch_scc1 .LBB6_1795
; %bb.1759:                             ;   in Loop: Header=BB6_1721 Depth=1
	s_cmp_eq_u32 s19, 0
	s_cbranch_scc1 .LBB6_1801
; %bb.1760:                             ;   in Loop: Header=BB6_1721 Depth=1
	s_mov_b64 s[14:15], 0
	v_pk_mov_b32 v[20:21], 0, 0
	s_mov_b64 s[16:17], s[4:5]
.LBB6_1761:                             ;   Parent Loop BB6_1721 Depth=1
                                        ; =>  This Inner Loop Header: Depth=2
	global_load_ubyte v2, v27, s[16:17]
	s_add_i32 s19, s19, -1
	s_waitcnt vmcnt(0)
	v_and_b32_e32 v26, 0xffff, v2
	v_lshlrev_b64 v[2:3], s14, v[26:27]
	s_add_u32 s14, s14, 8
	s_addc_u32 s15, s15, 0
	s_add_u32 s16, s16, 1
	s_addc_u32 s17, s17, 0
	v_or_b32_e32 v20, v2, v20
	s_cmp_lg_u32 s19, 0
	v_or_b32_e32 v21, v3, v21
	s_cbranch_scc1 .LBB6_1761
; %bb.1762:                             ;   in Loop: Header=BB6_1721 Depth=1
	s_cbranch_execnz .LBB6_1764
.LBB6_1763:                             ;   in Loop: Header=BB6_1721 Depth=1
	global_load_dwordx2 v[20:21], v27, s[4:5]
.LBB6_1764:                             ;   in Loop: Header=BB6_1721 Depth=1
	v_readfirstlane_b32 s4, v31
	v_cmp_eq_u32_e64 s[4:5], s4, v31
	v_pk_mov_b32 v[2:3], 0, 0
	s_and_saveexec_b64 s[14:15], s[4:5]
	s_cbranch_execz .LBB6_1770
; %bb.1765:                             ;   in Loop: Header=BB6_1721 Depth=1
	global_load_dwordx2 v[24:25], v27, s[6:7] offset:24 glc
	s_waitcnt vmcnt(0)
	buffer_invl2
	buffer_wbinvl1_vol
	global_load_dwordx2 v[2:3], v27, s[6:7] offset:40
	global_load_dwordx2 v[22:23], v27, s[6:7]
	s_waitcnt vmcnt(1)
	v_and_b32_e32 v2, v2, v24
	v_and_b32_e32 v3, v3, v25
	v_mul_lo_u32 v3, v3, 24
	v_mul_hi_u32 v26, v2, 24
	v_mul_lo_u32 v2, v2, 24
	v_add_u32_e32 v3, v26, v3
	s_waitcnt vmcnt(0)
	v_add_co_u32_e32 v2, vcc, v22, v2
	v_addc_co_u32_e32 v3, vcc, v23, v3, vcc
	global_load_dwordx2 v[22:23], v[2:3], off glc
	s_waitcnt vmcnt(0)
	global_atomic_cmpswap_x2 v[2:3], v27, v[22:25], s[6:7] offset:24 glc
	s_waitcnt vmcnt(0)
	buffer_invl2
	buffer_wbinvl1_vol
	v_cmp_ne_u64_e32 vcc, v[2:3], v[24:25]
	s_and_saveexec_b64 s[16:17], vcc
	s_cbranch_execz .LBB6_1769
; %bb.1766:                             ;   in Loop: Header=BB6_1721 Depth=1
	s_mov_b64 s[18:19], 0
.LBB6_1767:                             ;   Parent Loop BB6_1721 Depth=1
                                        ; =>  This Inner Loop Header: Depth=2
	s_sleep 1
	global_load_dwordx2 v[22:23], v27, s[6:7] offset:40
	global_load_dwordx2 v[28:29], v27, s[6:7]
	v_pk_mov_b32 v[24:25], v[2:3], v[2:3] op_sel:[0,1]
	s_waitcnt vmcnt(1)
	v_and_b32_e32 v2, v22, v24
	s_waitcnt vmcnt(0)
	v_mad_u64_u32 v[2:3], s[20:21], v2, 24, v[28:29]
	v_and_b32_e32 v23, v23, v25
	v_mov_b32_e32 v22, v3
	v_mad_u64_u32 v[22:23], s[20:21], v23, 24, v[22:23]
	v_mov_b32_e32 v3, v22
	global_load_dwordx2 v[22:23], v[2:3], off glc
	s_waitcnt vmcnt(0)
	global_atomic_cmpswap_x2 v[2:3], v27, v[22:25], s[6:7] offset:24 glc
	s_waitcnt vmcnt(0)
	buffer_invl2
	buffer_wbinvl1_vol
	v_cmp_eq_u64_e32 vcc, v[2:3], v[24:25]
	s_or_b64 s[18:19], vcc, s[18:19]
	s_andn2_b64 exec, exec, s[18:19]
	s_cbranch_execnz .LBB6_1767
; %bb.1768:                             ;   in Loop: Header=BB6_1721 Depth=1
	s_or_b64 exec, exec, s[18:19]
.LBB6_1769:                             ;   in Loop: Header=BB6_1721 Depth=1
	s_or_b64 exec, exec, s[16:17]
.LBB6_1770:                             ;   in Loop: Header=BB6_1721 Depth=1
	s_or_b64 exec, exec, s[14:15]
	global_load_dwordx2 v[28:29], v27, s[6:7] offset:40
	global_load_dwordx4 v[22:25], v27, s[6:7]
	v_readfirstlane_b32 s14, v2
	v_readfirstlane_b32 s15, v3
	s_mov_b64 s[16:17], exec
	s_waitcnt vmcnt(1)
	v_readfirstlane_b32 s18, v28
	v_readfirstlane_b32 s19, v29
	s_and_b64 s[18:19], s[14:15], s[18:19]
	s_mul_i32 s20, s19, 24
	s_mul_hi_u32 s21, s18, 24
	s_mul_i32 s22, s18, 24
	s_add_i32 s20, s21, s20
	v_mov_b32_e32 v2, s20
	s_waitcnt vmcnt(0)
	v_add_co_u32_e32 v28, vcc, s22, v22
	v_addc_co_u32_e32 v29, vcc, v23, v2, vcc
	s_and_saveexec_b64 s[20:21], s[4:5]
	s_cbranch_execz .LBB6_1772
; %bb.1771:                             ;   in Loop: Header=BB6_1721 Depth=1
	v_pk_mov_b32 v[2:3], s[16:17], s[16:17] op_sel:[0,1]
	global_store_dwordx4 v[28:29], v[2:5], off offset:8
.LBB6_1772:                             ;   in Loop: Header=BB6_1721 Depth=1
	s_or_b64 exec, exec, s[20:21]
	s_lshl_b64 s[16:17], s[18:19], 12
	v_mov_b32_e32 v3, s17
	v_add_co_u32_e32 v2, vcc, s16, v24
	v_addc_co_u32_e32 v3, vcc, v25, v3, vcc
	v_or_b32_e32 v24, 2, v6
	v_cmp_gt_u64_e64 vcc, s[10:11], 56
	s_lshl_b32 s16, s12, 2
	v_cndmask_b32_e32 v6, v24, v6, vcc
	s_add_i32 s16, s16, 28
	s_and_b32 s16, s16, 0x1e0
	v_and_b32_e32 v6, 0xffffff1f, v6
	v_or_b32_e32 v6, s16, v6
	v_readfirstlane_b32 s16, v2
	v_readfirstlane_b32 s17, v3
	s_nop 4
	global_store_dwordx4 v30, v[6:9], s[16:17]
	global_store_dwordx4 v30, v[10:13], s[16:17] offset:16
	global_store_dwordx4 v30, v[14:17], s[16:17] offset:32
	;; [unrolled: 1-line block ×3, first 2 shown]
	s_and_saveexec_b64 s[16:17], s[4:5]
	s_cbranch_execz .LBB6_1780
; %bb.1773:                             ;   in Loop: Header=BB6_1721 Depth=1
	global_load_dwordx2 v[14:15], v27, s[6:7] offset:32 glc
	global_load_dwordx2 v[6:7], v27, s[6:7] offset:40
	v_mov_b32_e32 v12, s14
	v_mov_b32_e32 v13, s15
	s_waitcnt vmcnt(0)
	v_readfirstlane_b32 s18, v6
	v_readfirstlane_b32 s19, v7
	s_and_b64 s[18:19], s[18:19], s[14:15]
	s_mul_i32 s19, s19, 24
	s_mul_hi_u32 s20, s18, 24
	s_mul_i32 s18, s18, 24
	s_add_i32 s19, s20, s19
	v_mov_b32_e32 v6, s19
	v_add_co_u32_e32 v10, vcc, s18, v22
	v_addc_co_u32_e32 v11, vcc, v23, v6, vcc
	global_store_dwordx2 v[10:11], v[14:15], off
	buffer_wbl2
	s_waitcnt vmcnt(0)
	global_atomic_cmpswap_x2 v[8:9], v27, v[12:15], s[6:7] offset:32 glc
	s_waitcnt vmcnt(0)
	v_cmp_ne_u64_e32 vcc, v[8:9], v[14:15]
	s_and_saveexec_b64 s[18:19], vcc
	s_cbranch_execz .LBB6_1776
; %bb.1774:                             ;   in Loop: Header=BB6_1721 Depth=1
	s_mov_b64 s[20:21], 0
.LBB6_1775:                             ;   Parent Loop BB6_1721 Depth=1
                                        ; =>  This Inner Loop Header: Depth=2
	s_sleep 1
	global_store_dwordx2 v[10:11], v[8:9], off
	v_mov_b32_e32 v6, s14
	v_mov_b32_e32 v7, s15
	buffer_wbl2
	s_waitcnt vmcnt(0)
	global_atomic_cmpswap_x2 v[6:7], v27, v[6:9], s[6:7] offset:32 glc
	s_waitcnt vmcnt(0)
	v_cmp_eq_u64_e32 vcc, v[6:7], v[8:9]
	s_or_b64 s[20:21], vcc, s[20:21]
	v_pk_mov_b32 v[8:9], v[6:7], v[6:7] op_sel:[0,1]
	s_andn2_b64 exec, exec, s[20:21]
	s_cbranch_execnz .LBB6_1775
.LBB6_1776:                             ;   in Loop: Header=BB6_1721 Depth=1
	s_or_b64 exec, exec, s[18:19]
	global_load_dwordx2 v[6:7], v27, s[6:7] offset:16
	s_mov_b64 s[20:21], exec
	v_mbcnt_lo_u32_b32 v8, s20, 0
	v_mbcnt_hi_u32_b32 v8, s21, v8
	v_cmp_eq_u32_e32 vcc, 0, v8
	s_and_saveexec_b64 s[18:19], vcc
	s_cbranch_execz .LBB6_1778
; %bb.1777:                             ;   in Loop: Header=BB6_1721 Depth=1
	s_bcnt1_i32_b64 s20, s[20:21]
	v_mov_b32_e32 v26, s20
	buffer_wbl2
	s_waitcnt vmcnt(0)
	global_atomic_add_x2 v[6:7], v[26:27], off offset:8
.LBB6_1778:                             ;   in Loop: Header=BB6_1721 Depth=1
	s_or_b64 exec, exec, s[18:19]
	s_waitcnt vmcnt(0)
	global_load_dwordx2 v[8:9], v[6:7], off offset:16
	s_waitcnt vmcnt(0)
	v_cmp_eq_u64_e32 vcc, 0, v[8:9]
	s_cbranch_vccnz .LBB6_1780
; %bb.1779:                             ;   in Loop: Header=BB6_1721 Depth=1
	global_load_dword v26, v[6:7], off offset:24
	s_waitcnt vmcnt(0)
	v_and_b32_e32 v6, 0xffffff, v26
	v_readfirstlane_b32 m0, v6
	buffer_wbl2
	global_store_dwordx2 v[8:9], v[26:27], off
	s_sendmsg sendmsg(MSG_INTERRUPT)
.LBB6_1780:                             ;   in Loop: Header=BB6_1721 Depth=1
	s_or_b64 exec, exec, s[16:17]
	v_add_co_u32_e32 v2, vcc, v2, v30
	v_addc_co_u32_e32 v3, vcc, 0, v3, vcc
	s_branch .LBB6_1782
.LBB6_1781:                             ;   in Loop: Header=BB6_1721 Depth=1
	s_branch .LBB6_1786
.LBB6_1782:                             ;   Parent Loop BB6_1721 Depth=1
                                        ; =>  This Inner Loop Header: Depth=2
	v_mov_b32_e32 v6, 1
	s_and_saveexec_b64 s[16:17], s[4:5]
	s_cbranch_execz .LBB6_1784
; %bb.1783:                             ;   in Loop: Header=BB6_1782 Depth=2
	global_load_dword v6, v[28:29], off offset:20 glc
	s_waitcnt vmcnt(0)
	buffer_invl2
	buffer_wbinvl1_vol
	v_and_b32_e32 v6, 1, v6
.LBB6_1784:                             ;   in Loop: Header=BB6_1782 Depth=2
	s_or_b64 exec, exec, s[16:17]
	v_readfirstlane_b32 s16, v6
	s_cmp_eq_u32 s16, 0
	s_cbranch_scc1 .LBB6_1781
; %bb.1785:                             ;   in Loop: Header=BB6_1782 Depth=2
	s_sleep 1
	s_cbranch_execnz .LBB6_1782
.LBB6_1786:                             ;   in Loop: Header=BB6_1721 Depth=1
	global_load_dwordx4 v[6:9], v[2:3], off
	s_and_saveexec_b64 s[16:17], s[4:5]
	s_cbranch_execz .LBB6_1720
; %bb.1787:                             ;   in Loop: Header=BB6_1721 Depth=1
	global_load_dwordx2 v[2:3], v27, s[6:7] offset:40
	global_load_dwordx2 v[12:13], v27, s[6:7] offset:24 glc
	global_load_dwordx2 v[14:15], v27, s[6:7]
	s_waitcnt vmcnt(3)
	v_mov_b32_e32 v9, s15
	s_waitcnt vmcnt(2)
	v_add_co_u32_e32 v11, vcc, 1, v2
	v_addc_co_u32_e32 v16, vcc, 0, v3, vcc
	v_add_co_u32_e32 v8, vcc, s14, v11
	v_addc_co_u32_e32 v9, vcc, v16, v9, vcc
	v_cmp_eq_u64_e32 vcc, 0, v[8:9]
	v_cndmask_b32_e32 v9, v9, v16, vcc
	v_cndmask_b32_e32 v8, v8, v11, vcc
	v_and_b32_e32 v3, v9, v3
	v_and_b32_e32 v2, v8, v2
	v_mul_lo_u32 v3, v3, 24
	v_mul_hi_u32 v11, v2, 24
	v_mul_lo_u32 v2, v2, 24
	v_add_u32_e32 v3, v11, v3
	s_waitcnt vmcnt(0)
	v_add_co_u32_e32 v2, vcc, v14, v2
	v_addc_co_u32_e32 v3, vcc, v15, v3, vcc
	v_mov_b32_e32 v10, v12
	global_store_dwordx2 v[2:3], v[12:13], off
	v_mov_b32_e32 v11, v13
	buffer_wbl2
	s_waitcnt vmcnt(0)
	global_atomic_cmpswap_x2 v[10:11], v27, v[8:11], s[6:7] offset:24 glc
	s_waitcnt vmcnt(0)
	v_cmp_ne_u64_e32 vcc, v[10:11], v[12:13]
	s_and_b64 exec, exec, vcc
	s_cbranch_execz .LBB6_1720
; %bb.1788:                             ;   in Loop: Header=BB6_1721 Depth=1
	s_mov_b64 s[4:5], 0
.LBB6_1789:                             ;   Parent Loop BB6_1721 Depth=1
                                        ; =>  This Inner Loop Header: Depth=2
	s_sleep 1
	global_store_dwordx2 v[2:3], v[10:11], off
	buffer_wbl2
	s_waitcnt vmcnt(0)
	global_atomic_cmpswap_x2 v[12:13], v27, v[8:11], s[6:7] offset:24 glc
	s_waitcnt vmcnt(0)
	v_cmp_eq_u64_e32 vcc, v[12:13], v[10:11]
	s_or_b64 s[4:5], vcc, s[4:5]
	v_pk_mov_b32 v[10:11], v[12:13], v[12:13] op_sel:[0,1]
	s_andn2_b64 exec, exec, s[4:5]
	s_cbranch_execnz .LBB6_1789
	s_branch .LBB6_1720
.LBB6_1790:                             ;   in Loop: Header=BB6_1721 Depth=1
                                        ; implicit-def: $vgpr10_vgpr11
                                        ; implicit-def: $sgpr19
	s_branch .LBB6_1733
.LBB6_1791:                             ;   in Loop: Header=BB6_1721 Depth=1
                                        ; implicit-def: $sgpr18
	s_branch .LBB6_1739
.LBB6_1792:                             ;   in Loop: Header=BB6_1721 Depth=1
                                        ; implicit-def: $vgpr14_vgpr15
                                        ; implicit-def: $sgpr19
	s_branch .LBB6_1745
.LBB6_1793:                             ;   in Loop: Header=BB6_1721 Depth=1
                                        ; implicit-def: $sgpr18
	s_branch .LBB6_1751
.LBB6_1794:                             ;   in Loop: Header=BB6_1721 Depth=1
                                        ; implicit-def: $vgpr18_vgpr19
                                        ; implicit-def: $sgpr19
	s_branch .LBB6_1757
.LBB6_1795:                             ;   in Loop: Header=BB6_1721 Depth=1
	s_branch .LBB6_1763
.LBB6_1796:                             ;   in Loop: Header=BB6_1721 Depth=1
	v_pk_mov_b32 v[10:11], 0, 0
	s_mov_b32 s19, 0
	s_cbranch_execnz .LBB6_1734
	s_branch .LBB6_1733
.LBB6_1797:                             ;   in Loop: Header=BB6_1721 Depth=1
	v_pk_mov_b32 v[12:13], 0, 0
	s_mov_b32 s18, 0
	s_cbranch_execnz .LBB6_1740
	s_branch .LBB6_1739
.LBB6_1798:                             ;   in Loop: Header=BB6_1721 Depth=1
	v_pk_mov_b32 v[14:15], 0, 0
	s_mov_b32 s19, 0
	s_cbranch_execnz .LBB6_1746
	s_branch .LBB6_1745
.LBB6_1799:                             ;   in Loop: Header=BB6_1721 Depth=1
	v_pk_mov_b32 v[16:17], 0, 0
	s_mov_b32 s18, 0
	s_cbranch_execnz .LBB6_1752
	s_branch .LBB6_1751
.LBB6_1800:                             ;   in Loop: Header=BB6_1721 Depth=1
	v_pk_mov_b32 v[18:19], 0, 0
	s_mov_b32 s19, 0
	s_cbranch_execnz .LBB6_1758
	s_branch .LBB6_1757
.LBB6_1801:                             ;   in Loop: Header=BB6_1721 Depth=1
	v_pk_mov_b32 v[20:21], 0, 0
	s_cbranch_execnz .LBB6_1764
	s_branch .LBB6_1763
.LBB6_1802:
	s_mov_b64 s[4:5], 0
	s_branch .LBB6_1804
.LBB6_1803:
	s_mov_b64 s[4:5], -1
.LBB6_1804:
	s_and_b64 vcc, exec, s[4:5]
	s_cbranch_vccz .LBB6_1831
; %bb.1805:
	v_readfirstlane_b32 s4, v31
	v_cmp_eq_u32_e64 s[4:5], s4, v31
	s_waitcnt vmcnt(0)
	v_pk_mov_b32 v[8:9], 0, 0
	s_and_saveexec_b64 s[8:9], s[4:5]
	s_cbranch_execz .LBB6_1811
; %bb.1806:
	v_mov_b32_e32 v2, 0
	global_load_dwordx2 v[6:7], v2, s[6:7] offset:24 glc
	s_waitcnt vmcnt(0)
	buffer_invl2
	buffer_wbinvl1_vol
	global_load_dwordx2 v[4:5], v2, s[6:7] offset:40
	global_load_dwordx2 v[8:9], v2, s[6:7]
	s_waitcnt vmcnt(1)
	v_and_b32_e32 v3, v4, v6
	v_and_b32_e32 v4, v5, v7
	v_mul_lo_u32 v4, v4, 24
	v_mul_hi_u32 v5, v3, 24
	v_mul_lo_u32 v3, v3, 24
	v_add_u32_e32 v5, v5, v4
	s_waitcnt vmcnt(0)
	v_add_co_u32_e32 v4, vcc, v8, v3
	v_addc_co_u32_e32 v5, vcc, v9, v5, vcc
	global_load_dwordx2 v[4:5], v[4:5], off glc
	s_waitcnt vmcnt(0)
	global_atomic_cmpswap_x2 v[8:9], v2, v[4:7], s[6:7] offset:24 glc
	s_waitcnt vmcnt(0)
	buffer_invl2
	buffer_wbinvl1_vol
	v_cmp_ne_u64_e32 vcc, v[8:9], v[6:7]
	s_and_saveexec_b64 s[10:11], vcc
	s_cbranch_execz .LBB6_1810
; %bb.1807:
	s_mov_b64 s[12:13], 0
.LBB6_1808:                             ; =>This Inner Loop Header: Depth=1
	s_sleep 1
	global_load_dwordx2 v[4:5], v2, s[6:7] offset:40
	global_load_dwordx2 v[10:11], v2, s[6:7]
	v_pk_mov_b32 v[6:7], v[8:9], v[8:9] op_sel:[0,1]
	s_waitcnt vmcnt(1)
	v_and_b32_e32 v4, v4, v6
	v_and_b32_e32 v3, v5, v7
	s_waitcnt vmcnt(0)
	v_mad_u64_u32 v[4:5], s[14:15], v4, 24, v[10:11]
	v_mov_b32_e32 v8, v5
	v_mad_u64_u32 v[8:9], s[14:15], v3, 24, v[8:9]
	v_mov_b32_e32 v5, v8
	global_load_dwordx2 v[4:5], v[4:5], off glc
	s_waitcnt vmcnt(0)
	global_atomic_cmpswap_x2 v[8:9], v2, v[4:7], s[6:7] offset:24 glc
	s_waitcnt vmcnt(0)
	buffer_invl2
	buffer_wbinvl1_vol
	v_cmp_eq_u64_e32 vcc, v[8:9], v[6:7]
	s_or_b64 s[12:13], vcc, s[12:13]
	s_andn2_b64 exec, exec, s[12:13]
	s_cbranch_execnz .LBB6_1808
; %bb.1809:
	s_or_b64 exec, exec, s[12:13]
.LBB6_1810:
	s_or_b64 exec, exec, s[10:11]
.LBB6_1811:
	s_or_b64 exec, exec, s[8:9]
	v_mov_b32_e32 v2, 0
	global_load_dwordx2 v[10:11], v2, s[6:7] offset:40
	global_load_dwordx4 v[4:7], v2, s[6:7]
	v_readfirstlane_b32 s8, v8
	v_readfirstlane_b32 s9, v9
	s_mov_b64 s[10:11], exec
	s_waitcnt vmcnt(1)
	v_readfirstlane_b32 s12, v10
	v_readfirstlane_b32 s13, v11
	s_and_b64 s[12:13], s[8:9], s[12:13]
	s_mul_i32 s14, s13, 24
	s_mul_hi_u32 s15, s12, 24
	s_mul_i32 s16, s12, 24
	s_add_i32 s14, s15, s14
	v_mov_b32_e32 v3, s14
	s_waitcnt vmcnt(0)
	v_add_co_u32_e32 v8, vcc, s16, v4
	v_addc_co_u32_e32 v9, vcc, v5, v3, vcc
	s_and_saveexec_b64 s[14:15], s[4:5]
	s_cbranch_execz .LBB6_1813
; %bb.1812:
	v_pk_mov_b32 v[10:11], s[10:11], s[10:11] op_sel:[0,1]
	v_mov_b32_e32 v12, 2
	v_mov_b32_e32 v13, 1
	global_store_dwordx4 v[8:9], v[10:13], off offset:8
.LBB6_1813:
	s_or_b64 exec, exec, s[14:15]
	s_lshl_b64 s[10:11], s[12:13], 12
	v_mov_b32_e32 v3, s11
	v_add_co_u32_e32 v6, vcc, s10, v6
	v_addc_co_u32_e32 v7, vcc, v7, v3, vcc
	s_movk_i32 s10, 0xff1d
	s_mov_b32 s12, 0
	v_and_or_b32 v0, v0, s10, 34
	v_mov_b32_e32 v3, v2
	v_readfirstlane_b32 s10, v6
	v_readfirstlane_b32 s11, v7
	s_mov_b32 s13, s12
	s_mov_b32 s14, s12
	s_mov_b32 s15, s12
	s_nop 1
	global_store_dwordx4 v30, v[0:3], s[10:11]
	s_nop 0
	v_pk_mov_b32 v[0:1], s[12:13], s[12:13] op_sel:[0,1]
	v_pk_mov_b32 v[2:3], s[14:15], s[14:15] op_sel:[0,1]
	global_store_dwordx4 v30, v[0:3], s[10:11] offset:16
	global_store_dwordx4 v30, v[0:3], s[10:11] offset:32
	;; [unrolled: 1-line block ×3, first 2 shown]
	s_and_saveexec_b64 s[10:11], s[4:5]
	s_cbranch_execz .LBB6_1821
; %bb.1814:
	v_mov_b32_e32 v6, 0
	global_load_dwordx2 v[12:13], v6, s[6:7] offset:32 glc
	global_load_dwordx2 v[0:1], v6, s[6:7] offset:40
	v_mov_b32_e32 v10, s8
	v_mov_b32_e32 v11, s9
	s_waitcnt vmcnt(0)
	v_readfirstlane_b32 s12, v0
	v_readfirstlane_b32 s13, v1
	s_and_b64 s[12:13], s[12:13], s[8:9]
	s_mul_i32 s13, s13, 24
	s_mul_hi_u32 s14, s12, 24
	s_mul_i32 s12, s12, 24
	s_add_i32 s13, s14, s13
	v_mov_b32_e32 v0, s13
	v_add_co_u32_e32 v4, vcc, s12, v4
	v_addc_co_u32_e32 v5, vcc, v5, v0, vcc
	global_store_dwordx2 v[4:5], v[12:13], off
	buffer_wbl2
	s_waitcnt vmcnt(0)
	global_atomic_cmpswap_x2 v[2:3], v6, v[10:13], s[6:7] offset:32 glc
	s_waitcnt vmcnt(0)
	v_cmp_ne_u64_e32 vcc, v[2:3], v[12:13]
	s_and_saveexec_b64 s[12:13], vcc
	s_cbranch_execz .LBB6_1817
; %bb.1815:
	s_mov_b64 s[14:15], 0
.LBB6_1816:                             ; =>This Inner Loop Header: Depth=1
	s_sleep 1
	global_store_dwordx2 v[4:5], v[2:3], off
	v_mov_b32_e32 v0, s8
	v_mov_b32_e32 v1, s9
	buffer_wbl2
	s_waitcnt vmcnt(0)
	global_atomic_cmpswap_x2 v[0:1], v6, v[0:3], s[6:7] offset:32 glc
	s_waitcnt vmcnt(0)
	v_cmp_eq_u64_e32 vcc, v[0:1], v[2:3]
	s_or_b64 s[14:15], vcc, s[14:15]
	v_pk_mov_b32 v[2:3], v[0:1], v[0:1] op_sel:[0,1]
	s_andn2_b64 exec, exec, s[14:15]
	s_cbranch_execnz .LBB6_1816
.LBB6_1817:
	s_or_b64 exec, exec, s[12:13]
	v_mov_b32_e32 v3, 0
	global_load_dwordx2 v[0:1], v3, s[6:7] offset:16
	s_mov_b64 s[12:13], exec
	v_mbcnt_lo_u32_b32 v2, s12, 0
	v_mbcnt_hi_u32_b32 v2, s13, v2
	v_cmp_eq_u32_e32 vcc, 0, v2
	s_and_saveexec_b64 s[14:15], vcc
	s_cbranch_execz .LBB6_1819
; %bb.1818:
	s_bcnt1_i32_b64 s12, s[12:13]
	v_mov_b32_e32 v2, s12
	buffer_wbl2
	s_waitcnt vmcnt(0)
	global_atomic_add_x2 v[0:1], v[2:3], off offset:8
.LBB6_1819:
	s_or_b64 exec, exec, s[14:15]
	s_waitcnt vmcnt(0)
	global_load_dwordx2 v[2:3], v[0:1], off offset:16
	s_waitcnt vmcnt(0)
	v_cmp_eq_u64_e32 vcc, 0, v[2:3]
	s_cbranch_vccnz .LBB6_1821
; %bb.1820:
	global_load_dword v0, v[0:1], off offset:24
	v_mov_b32_e32 v1, 0
	buffer_wbl2
	s_waitcnt vmcnt(0)
	global_store_dwordx2 v[2:3], v[0:1], off
	v_and_b32_e32 v0, 0xffffff, v0
	v_readfirstlane_b32 m0, v0
	s_sendmsg sendmsg(MSG_INTERRUPT)
.LBB6_1821:
	s_or_b64 exec, exec, s[10:11]
	s_branch .LBB6_1823
.LBB6_1822:
	s_branch .LBB6_1827
.LBB6_1823:                             ; =>This Inner Loop Header: Depth=1
	v_mov_b32_e32 v0, 1
	s_and_saveexec_b64 s[10:11], s[4:5]
	s_cbranch_execz .LBB6_1825
; %bb.1824:                             ;   in Loop: Header=BB6_1823 Depth=1
	global_load_dword v0, v[8:9], off offset:20 glc
	s_waitcnt vmcnt(0)
	buffer_invl2
	buffer_wbinvl1_vol
	v_and_b32_e32 v0, 1, v0
.LBB6_1825:                             ;   in Loop: Header=BB6_1823 Depth=1
	s_or_b64 exec, exec, s[10:11]
	v_readfirstlane_b32 s10, v0
	s_cmp_eq_u32 s10, 0
	s_cbranch_scc1 .LBB6_1822
; %bb.1826:                             ;   in Loop: Header=BB6_1823 Depth=1
	s_sleep 1
	s_cbranch_execnz .LBB6_1823
.LBB6_1827:
	s_and_saveexec_b64 s[10:11], s[4:5]
	s_cbranch_execz .LBB6_1830
; %bb.1828:
	v_mov_b32_e32 v6, 0
	global_load_dwordx2 v[4:5], v6, s[6:7] offset:40
	global_load_dwordx2 v[8:9], v6, s[6:7] offset:24 glc
	global_load_dwordx2 v[10:11], v6, s[6:7]
	v_mov_b32_e32 v1, s9
	s_mov_b64 s[4:5], 0
	s_waitcnt vmcnt(2)
	v_add_co_u32_e32 v3, vcc, 1, v4
	v_addc_co_u32_e32 v7, vcc, 0, v5, vcc
	v_add_co_u32_e32 v0, vcc, s8, v3
	v_addc_co_u32_e32 v1, vcc, v7, v1, vcc
	v_cmp_eq_u64_e32 vcc, 0, v[0:1]
	v_cndmask_b32_e32 v1, v1, v7, vcc
	v_cndmask_b32_e32 v0, v0, v3, vcc
	v_and_b32_e32 v3, v1, v5
	v_and_b32_e32 v4, v0, v4
	v_mul_lo_u32 v3, v3, 24
	v_mul_hi_u32 v5, v4, 24
	v_mul_lo_u32 v4, v4, 24
	v_add_u32_e32 v3, v5, v3
	s_waitcnt vmcnt(0)
	v_add_co_u32_e32 v4, vcc, v10, v4
	v_addc_co_u32_e32 v5, vcc, v11, v3, vcc
	v_mov_b32_e32 v2, v8
	global_store_dwordx2 v[4:5], v[8:9], off
	v_mov_b32_e32 v3, v9
	buffer_wbl2
	s_waitcnt vmcnt(0)
	global_atomic_cmpswap_x2 v[2:3], v6, v[0:3], s[6:7] offset:24 glc
	s_waitcnt vmcnt(0)
	v_cmp_ne_u64_e32 vcc, v[2:3], v[8:9]
	s_and_b64 exec, exec, vcc
	s_cbranch_execz .LBB6_1830
.LBB6_1829:                             ; =>This Inner Loop Header: Depth=1
	s_sleep 1
	global_store_dwordx2 v[4:5], v[2:3], off
	buffer_wbl2
	s_waitcnt vmcnt(0)
	global_atomic_cmpswap_x2 v[8:9], v6, v[0:3], s[6:7] offset:24 glc
	s_waitcnt vmcnt(0)
	v_cmp_eq_u64_e32 vcc, v[8:9], v[2:3]
	s_or_b64 s[4:5], vcc, s[4:5]
	v_pk_mov_b32 v[2:3], v[8:9], v[8:9] op_sel:[0,1]
	s_andn2_b64 exec, exec, s[4:5]
	s_cbranch_execnz .LBB6_1829
.LBB6_1830:
	s_or_b64 exec, exec, s[10:11]
.LBB6_1831:
	s_getpc_b64 s[4:5]
	s_add_u32 s4, s4, .str.29@rel32@lo+4
	s_addc_u32 s5, s5, .str.29@rel32@hi+12
	s_getpc_b64 s[6:7]
	s_add_u32 s6, s6, .str.19@rel32@lo+4
	s_addc_u32 s7, s7, .str.19@rel32@hi+12
	s_getpc_b64 s[10:11]
	s_add_u32 s10, s10, __PRETTY_FUNCTION__._ZN7VecsMemIjLi8192EE5fetchEi@rel32@lo+4
	s_addc_u32 s11, s11, __PRETTY_FUNCTION__._ZN7VecsMemIjLi8192EE5fetchEi@rel32@hi+12
	s_mov_b64 s[8:9], s[48:49]
	s_waitcnt vmcnt(0)
	v_mov_b32_e32 v0, s4
	v_mov_b32_e32 v1, s5
	;; [unrolled: 1-line block ×7, first 2 shown]
	s_getpc_b64 s[12:13]
	s_add_u32 s12, s12, __assert_fail@rel32@lo+4
	s_addc_u32 s13, s13, __assert_fail@rel32@hi+12
	s_swappc_b64 s[30:31], s[12:13]
	s_or_b64 s[58:59], s[58:59], exec
                                        ; implicit-def: $vgpr40
.LBB6_1832:
	s_or_b64 exec, exec, s[26:27]
	s_and_saveexec_b64 s[4:5], s[60:61]
	s_xor_b64 s[26:27], exec, s[4:5]
	s_cbranch_execz .LBB6_1972
; %bb.1833:
	s_load_dwordx2 s[6:7], s[48:49], 0x50
	v_mbcnt_lo_u32_b32 v0, -1, 0
	v_mbcnt_hi_u32_b32 v31, -1, v0
	v_readfirstlane_b32 s4, v31
	v_cmp_eq_u32_e64 s[4:5], s4, v31
	v_pk_mov_b32 v[6:7], 0, 0
	s_and_saveexec_b64 s[8:9], s[4:5]
	s_cbranch_execz .LBB6_1839
; %bb.1834:
	v_mov_b32_e32 v0, 0
	s_waitcnt lgkmcnt(0)
	global_load_dwordx2 v[4:5], v0, s[6:7] offset:24 glc
	s_waitcnt vmcnt(0)
	buffer_invl2
	buffer_wbinvl1_vol
	global_load_dwordx2 v[2:3], v0, s[6:7] offset:40
	global_load_dwordx2 v[6:7], v0, s[6:7]
	s_waitcnt vmcnt(1)
	v_and_b32_e32 v1, v2, v4
	v_and_b32_e32 v2, v3, v5
	v_mul_lo_u32 v2, v2, 24
	v_mul_hi_u32 v3, v1, 24
	v_mul_lo_u32 v1, v1, 24
	v_add_u32_e32 v3, v3, v2
	s_waitcnt vmcnt(0)
	v_add_co_u32_e32 v2, vcc, v6, v1
	v_addc_co_u32_e32 v3, vcc, v7, v3, vcc
	global_load_dwordx2 v[2:3], v[2:3], off glc
	s_waitcnt vmcnt(0)
	global_atomic_cmpswap_x2 v[6:7], v0, v[2:5], s[6:7] offset:24 glc
	s_waitcnt vmcnt(0)
	buffer_invl2
	buffer_wbinvl1_vol
	v_cmp_ne_u64_e32 vcc, v[6:7], v[4:5]
	s_and_saveexec_b64 s[10:11], vcc
	s_cbranch_execz .LBB6_1838
; %bb.1835:
	s_mov_b64 s[12:13], 0
.LBB6_1836:                             ; =>This Inner Loop Header: Depth=1
	s_sleep 1
	global_load_dwordx2 v[2:3], v0, s[6:7] offset:40
	global_load_dwordx2 v[8:9], v0, s[6:7]
	v_pk_mov_b32 v[4:5], v[6:7], v[6:7] op_sel:[0,1]
	s_waitcnt vmcnt(1)
	v_and_b32_e32 v2, v2, v4
	v_and_b32_e32 v1, v3, v5
	s_waitcnt vmcnt(0)
	v_mad_u64_u32 v[2:3], s[14:15], v2, 24, v[8:9]
	v_mov_b32_e32 v6, v3
	v_mad_u64_u32 v[6:7], s[14:15], v1, 24, v[6:7]
	v_mov_b32_e32 v3, v6
	global_load_dwordx2 v[2:3], v[2:3], off glc
	s_waitcnt vmcnt(0)
	global_atomic_cmpswap_x2 v[6:7], v0, v[2:5], s[6:7] offset:24 glc
	s_waitcnt vmcnt(0)
	buffer_invl2
	buffer_wbinvl1_vol
	v_cmp_eq_u64_e32 vcc, v[6:7], v[4:5]
	s_or_b64 s[12:13], vcc, s[12:13]
	s_andn2_b64 exec, exec, s[12:13]
	s_cbranch_execnz .LBB6_1836
; %bb.1837:
	s_or_b64 exec, exec, s[12:13]
.LBB6_1838:
	s_or_b64 exec, exec, s[10:11]
.LBB6_1839:
	s_or_b64 exec, exec, s[8:9]
	v_mov_b32_e32 v5, 0
	s_waitcnt lgkmcnt(0)
	global_load_dwordx2 v[8:9], v5, s[6:7] offset:40
	global_load_dwordx4 v[0:3], v5, s[6:7]
	v_readfirstlane_b32 s8, v6
	v_readfirstlane_b32 s9, v7
	s_mov_b64 s[10:11], exec
	s_waitcnt vmcnt(0)
	v_readfirstlane_b32 s12, v8
	v_readfirstlane_b32 s13, v9
	s_and_b64 s[12:13], s[8:9], s[12:13]
	s_mul_i32 s14, s13, 24
	s_mul_hi_u32 s15, s12, 24
	s_mul_i32 s16, s12, 24
	s_add_i32 s14, s15, s14
	v_mov_b32_e32 v4, s14
	v_add_co_u32_e32 v8, vcc, s16, v0
	v_addc_co_u32_e32 v9, vcc, v1, v4, vcc
	s_and_saveexec_b64 s[14:15], s[4:5]
	s_cbranch_execz .LBB6_1841
; %bb.1840:
	v_pk_mov_b32 v[10:11], s[10:11], s[10:11] op_sel:[0,1]
	v_mov_b32_e32 v12, 2
	v_mov_b32_e32 v13, 1
	global_store_dwordx4 v[8:9], v[10:13], off offset:8
.LBB6_1841:
	s_or_b64 exec, exec, s[14:15]
	s_lshl_b64 s[10:11], s[12:13], 12
	v_mov_b32_e32 v4, s11
	v_add_co_u32_e32 v2, vcc, s10, v2
	v_addc_co_u32_e32 v3, vcc, v3, v4, vcc
	s_mov_b32 s12, 0
	v_lshlrev_b32_e32 v30, 6, v31
	v_add_co_u32_e32 v10, vcc, v2, v30
	v_mov_b32_e32 v4, 33
	v_mov_b32_e32 v6, v5
	;; [unrolled: 1-line block ×3, first 2 shown]
	v_readfirstlane_b32 s10, v2
	v_readfirstlane_b32 s11, v3
	s_mov_b32 s13, s12
	v_addc_co_u32_e32 v11, vcc, 0, v3, vcc
	s_mov_b32 s14, s12
	s_mov_b32 s15, s12
	s_nop 0
	global_store_dwordx4 v30, v[4:7], s[10:11]
	v_pk_mov_b32 v[2:3], s[12:13], s[12:13] op_sel:[0,1]
	v_pk_mov_b32 v[4:5], s[14:15], s[14:15] op_sel:[0,1]
	global_store_dwordx4 v30, v[2:5], s[10:11] offset:16
	global_store_dwordx4 v30, v[2:5], s[10:11] offset:32
	;; [unrolled: 1-line block ×3, first 2 shown]
	s_and_saveexec_b64 s[10:11], s[4:5]
	s_cbranch_execz .LBB6_1849
; %bb.1842:
	v_mov_b32_e32 v6, 0
	global_load_dwordx2 v[14:15], v6, s[6:7] offset:32 glc
	global_load_dwordx2 v[2:3], v6, s[6:7] offset:40
	v_mov_b32_e32 v12, s8
	v_mov_b32_e32 v13, s9
	s_waitcnt vmcnt(0)
	v_and_b32_e32 v2, s8, v2
	v_and_b32_e32 v3, s9, v3
	v_mul_lo_u32 v3, v3, 24
	v_mul_hi_u32 v4, v2, 24
	v_mul_lo_u32 v2, v2, 24
	v_add_u32_e32 v3, v4, v3
	v_add_co_u32_e32 v4, vcc, v0, v2
	v_addc_co_u32_e32 v5, vcc, v1, v3, vcc
	global_store_dwordx2 v[4:5], v[14:15], off
	buffer_wbl2
	s_waitcnt vmcnt(0)
	global_atomic_cmpswap_x2 v[2:3], v6, v[12:15], s[6:7] offset:32 glc
	s_waitcnt vmcnt(0)
	v_cmp_ne_u64_e32 vcc, v[2:3], v[14:15]
	s_and_saveexec_b64 s[12:13], vcc
	s_cbranch_execz .LBB6_1845
; %bb.1843:
	s_mov_b64 s[14:15], 0
.LBB6_1844:                             ; =>This Inner Loop Header: Depth=1
	s_sleep 1
	global_store_dwordx2 v[4:5], v[2:3], off
	v_mov_b32_e32 v0, s8
	v_mov_b32_e32 v1, s9
	buffer_wbl2
	s_waitcnt vmcnt(0)
	global_atomic_cmpswap_x2 v[0:1], v6, v[0:3], s[6:7] offset:32 glc
	s_waitcnt vmcnt(0)
	v_cmp_eq_u64_e32 vcc, v[0:1], v[2:3]
	s_or_b64 s[14:15], vcc, s[14:15]
	v_pk_mov_b32 v[2:3], v[0:1], v[0:1] op_sel:[0,1]
	s_andn2_b64 exec, exec, s[14:15]
	s_cbranch_execnz .LBB6_1844
.LBB6_1845:
	s_or_b64 exec, exec, s[12:13]
	v_mov_b32_e32 v3, 0
	global_load_dwordx2 v[0:1], v3, s[6:7] offset:16
	s_mov_b64 s[12:13], exec
	v_mbcnt_lo_u32_b32 v2, s12, 0
	v_mbcnt_hi_u32_b32 v2, s13, v2
	v_cmp_eq_u32_e32 vcc, 0, v2
	s_and_saveexec_b64 s[14:15], vcc
	s_cbranch_execz .LBB6_1847
; %bb.1846:
	s_bcnt1_i32_b64 s12, s[12:13]
	v_mov_b32_e32 v2, s12
	buffer_wbl2
	s_waitcnt vmcnt(0)
	global_atomic_add_x2 v[0:1], v[2:3], off offset:8
.LBB6_1847:
	s_or_b64 exec, exec, s[14:15]
	s_waitcnt vmcnt(0)
	global_load_dwordx2 v[2:3], v[0:1], off offset:16
	s_waitcnt vmcnt(0)
	v_cmp_eq_u64_e32 vcc, 0, v[2:3]
	s_cbranch_vccnz .LBB6_1849
; %bb.1848:
	global_load_dword v0, v[0:1], off offset:24
	v_mov_b32_e32 v1, 0
	buffer_wbl2
	s_waitcnt vmcnt(0)
	global_store_dwordx2 v[2:3], v[0:1], off
	v_and_b32_e32 v0, 0xffffff, v0
	v_readfirstlane_b32 m0, v0
	s_sendmsg sendmsg(MSG_INTERRUPT)
.LBB6_1849:
	s_or_b64 exec, exec, s[10:11]
	s_branch .LBB6_1851
.LBB6_1850:
	s_branch .LBB6_1855
.LBB6_1851:                             ; =>This Inner Loop Header: Depth=1
	v_mov_b32_e32 v0, 1
	s_and_saveexec_b64 s[10:11], s[4:5]
	s_cbranch_execz .LBB6_1853
; %bb.1852:                             ;   in Loop: Header=BB6_1851 Depth=1
	global_load_dword v0, v[8:9], off offset:20 glc
	s_waitcnt vmcnt(0)
	buffer_invl2
	buffer_wbinvl1_vol
	v_and_b32_e32 v0, 1, v0
.LBB6_1853:                             ;   in Loop: Header=BB6_1851 Depth=1
	s_or_b64 exec, exec, s[10:11]
	v_readfirstlane_b32 s10, v0
	s_cmp_eq_u32 s10, 0
	s_cbranch_scc1 .LBB6_1850
; %bb.1854:                             ;   in Loop: Header=BB6_1851 Depth=1
	s_sleep 1
	s_cbranch_execnz .LBB6_1851
.LBB6_1855:
	global_load_dwordx2 v[0:1], v[10:11], off
	s_and_saveexec_b64 s[10:11], s[4:5]
	s_cbranch_execz .LBB6_1858
; %bb.1856:
	v_mov_b32_e32 v8, 0
	global_load_dwordx2 v[6:7], v8, s[6:7] offset:40
	global_load_dwordx2 v[10:11], v8, s[6:7] offset:24 glc
	global_load_dwordx2 v[12:13], v8, s[6:7]
	v_mov_b32_e32 v3, s9
	s_mov_b64 s[4:5], 0
	s_waitcnt vmcnt(2)
	v_add_co_u32_e32 v5, vcc, 1, v6
	v_addc_co_u32_e32 v9, vcc, 0, v7, vcc
	v_add_co_u32_e32 v2, vcc, s8, v5
	v_addc_co_u32_e32 v3, vcc, v9, v3, vcc
	v_cmp_eq_u64_e32 vcc, 0, v[2:3]
	v_cndmask_b32_e32 v3, v3, v9, vcc
	v_cndmask_b32_e32 v2, v2, v5, vcc
	v_and_b32_e32 v5, v3, v7
	v_and_b32_e32 v6, v2, v6
	v_mul_lo_u32 v5, v5, 24
	v_mul_hi_u32 v7, v6, 24
	v_mul_lo_u32 v6, v6, 24
	v_add_u32_e32 v5, v7, v5
	s_waitcnt vmcnt(0)
	v_add_co_u32_e32 v6, vcc, v12, v6
	v_addc_co_u32_e32 v7, vcc, v13, v5, vcc
	v_mov_b32_e32 v4, v10
	global_store_dwordx2 v[6:7], v[10:11], off
	v_mov_b32_e32 v5, v11
	buffer_wbl2
	s_waitcnt vmcnt(0)
	global_atomic_cmpswap_x2 v[4:5], v8, v[2:5], s[6:7] offset:24 glc
	s_waitcnt vmcnt(0)
	v_cmp_ne_u64_e32 vcc, v[4:5], v[10:11]
	s_and_b64 exec, exec, vcc
	s_cbranch_execz .LBB6_1858
.LBB6_1857:                             ; =>This Inner Loop Header: Depth=1
	s_sleep 1
	global_store_dwordx2 v[6:7], v[4:5], off
	buffer_wbl2
	s_waitcnt vmcnt(0)
	global_atomic_cmpswap_x2 v[10:11], v8, v[2:5], s[6:7] offset:24 glc
	s_waitcnt vmcnt(0)
	v_cmp_eq_u64_e32 vcc, v[10:11], v[4:5]
	s_or_b64 s[4:5], vcc, s[4:5]
	v_pk_mov_b32 v[4:5], v[10:11], v[10:11] op_sel:[0,1]
	s_andn2_b64 exec, exec, s[4:5]
	s_cbranch_execnz .LBB6_1857
.LBB6_1858:
	s_or_b64 exec, exec, s[10:11]
	s_getpc_b64 s[8:9]
	s_add_u32 s8, s8, .str.28@rel32@lo+4
	s_addc_u32 s9, s9, .str.28@rel32@hi+12
	s_cmp_lg_u64 s[8:9], 0
	s_cbranch_scc0 .LBB6_1943
; %bb.1859:
	s_waitcnt vmcnt(0)
	v_and_b32_e32 v6, -3, v0
	v_mov_b32_e32 v7, v1
	s_mov_b64 s[10:11], 35
	v_mov_b32_e32 v27, 0
	v_mov_b32_e32 v4, 2
	v_mov_b32_e32 v5, 1
	s_branch .LBB6_1861
.LBB6_1860:                             ;   in Loop: Header=BB6_1861 Depth=1
	s_or_b64 exec, exec, s[16:17]
	s_sub_u32 s10, s10, s12
	s_subb_u32 s11, s11, s13
	s_add_u32 s8, s8, s12
	s_addc_u32 s9, s9, s13
	s_cmp_lg_u64 s[10:11], 0
	s_cbranch_scc0 .LBB6_1942
.LBB6_1861:                             ; =>This Loop Header: Depth=1
                                        ;     Child Loop BB6_1864 Depth 2
                                        ;     Child Loop BB6_1871 Depth 2
	;; [unrolled: 1-line block ×11, first 2 shown]
	v_cmp_lt_u64_e64 s[4:5], s[10:11], 56
	s_and_b64 s[4:5], s[4:5], exec
	v_cmp_gt_u64_e64 s[4:5], s[10:11], 7
	s_cselect_b32 s13, s11, 0
	s_cselect_b32 s12, s10, 56
	s_and_b64 vcc, exec, s[4:5]
	s_cbranch_vccnz .LBB6_1866
; %bb.1862:                             ;   in Loop: Header=BB6_1861 Depth=1
	s_mov_b64 s[4:5], 0
	s_cmp_eq_u64 s[10:11], 0
	s_waitcnt vmcnt(0)
	v_pk_mov_b32 v[8:9], 0, 0
	s_cbranch_scc1 .LBB6_1865
; %bb.1863:                             ;   in Loop: Header=BB6_1861 Depth=1
	s_lshl_b64 s[14:15], s[12:13], 3
	s_mov_b64 s[16:17], 0
	v_pk_mov_b32 v[8:9], 0, 0
	s_mov_b64 s[18:19], s[8:9]
.LBB6_1864:                             ;   Parent Loop BB6_1861 Depth=1
                                        ; =>  This Inner Loop Header: Depth=2
	global_load_ubyte v2, v27, s[18:19]
	s_waitcnt vmcnt(0)
	v_and_b32_e32 v26, 0xffff, v2
	v_lshlrev_b64 v[2:3], s16, v[26:27]
	s_add_u32 s16, s16, 8
	s_addc_u32 s17, s17, 0
	s_add_u32 s18, s18, 1
	s_addc_u32 s19, s19, 0
	v_or_b32_e32 v8, v2, v8
	s_cmp_lg_u32 s14, s16
	v_or_b32_e32 v9, v3, v9
	s_cbranch_scc1 .LBB6_1864
.LBB6_1865:                             ;   in Loop: Header=BB6_1861 Depth=1
	s_mov_b32 s18, 0
	s_andn2_b64 vcc, exec, s[4:5]
	s_mov_b64 s[4:5], s[8:9]
	s_cbranch_vccz .LBB6_1867
	s_branch .LBB6_1868
.LBB6_1866:                             ;   in Loop: Header=BB6_1861 Depth=1
                                        ; implicit-def: $sgpr18
	s_mov_b64 s[4:5], s[8:9]
.LBB6_1867:                             ;   in Loop: Header=BB6_1861 Depth=1
	global_load_dwordx2 v[8:9], v27, s[8:9]
	s_add_i32 s18, s12, -8
	s_add_u32 s4, s8, 8
	s_addc_u32 s5, s9, 0
.LBB6_1868:                             ;   in Loop: Header=BB6_1861 Depth=1
	s_cmp_gt_u32 s18, 7
	s_cbranch_scc1 .LBB6_1930
; %bb.1869:                             ;   in Loop: Header=BB6_1861 Depth=1
	s_cmp_eq_u32 s18, 0
	s_cbranch_scc1 .LBB6_1936
; %bb.1870:                             ;   in Loop: Header=BB6_1861 Depth=1
	s_mov_b64 s[14:15], 0
	v_pk_mov_b32 v[10:11], 0, 0
	s_mov_b64 s[16:17], 0
.LBB6_1871:                             ;   Parent Loop BB6_1861 Depth=1
                                        ; =>  This Inner Loop Header: Depth=2
	s_add_u32 s20, s4, s16
	s_addc_u32 s21, s5, s17
	global_load_ubyte v2, v27, s[20:21]
	s_add_u32 s16, s16, 1
	s_addc_u32 s17, s17, 0
	s_waitcnt vmcnt(0)
	v_and_b32_e32 v26, 0xffff, v2
	v_lshlrev_b64 v[2:3], s14, v[26:27]
	s_add_u32 s14, s14, 8
	s_addc_u32 s15, s15, 0
	v_or_b32_e32 v10, v2, v10
	s_cmp_lg_u32 s18, s16
	v_or_b32_e32 v11, v3, v11
	s_cbranch_scc1 .LBB6_1871
; %bb.1872:                             ;   in Loop: Header=BB6_1861 Depth=1
	s_mov_b32 s19, 0
	s_cbranch_execnz .LBB6_1874
.LBB6_1873:                             ;   in Loop: Header=BB6_1861 Depth=1
	global_load_dwordx2 v[10:11], v27, s[4:5]
	s_add_i32 s19, s18, -8
	s_add_u32 s4, s4, 8
	s_addc_u32 s5, s5, 0
.LBB6_1874:                             ;   in Loop: Header=BB6_1861 Depth=1
	s_cmp_gt_u32 s19, 7
	s_cbranch_scc1 .LBB6_1931
; %bb.1875:                             ;   in Loop: Header=BB6_1861 Depth=1
	s_cmp_eq_u32 s19, 0
	s_cbranch_scc1 .LBB6_1937
; %bb.1876:                             ;   in Loop: Header=BB6_1861 Depth=1
	s_mov_b64 s[14:15], 0
	v_pk_mov_b32 v[12:13], 0, 0
	s_mov_b64 s[16:17], 0
.LBB6_1877:                             ;   Parent Loop BB6_1861 Depth=1
                                        ; =>  This Inner Loop Header: Depth=2
	s_add_u32 s20, s4, s16
	s_addc_u32 s21, s5, s17
	global_load_ubyte v2, v27, s[20:21]
	s_add_u32 s16, s16, 1
	s_addc_u32 s17, s17, 0
	s_waitcnt vmcnt(0)
	v_and_b32_e32 v26, 0xffff, v2
	v_lshlrev_b64 v[2:3], s14, v[26:27]
	s_add_u32 s14, s14, 8
	s_addc_u32 s15, s15, 0
	v_or_b32_e32 v12, v2, v12
	s_cmp_lg_u32 s19, s16
	v_or_b32_e32 v13, v3, v13
	s_cbranch_scc1 .LBB6_1877
; %bb.1878:                             ;   in Loop: Header=BB6_1861 Depth=1
	s_mov_b32 s18, 0
	s_cbranch_execnz .LBB6_1880
.LBB6_1879:                             ;   in Loop: Header=BB6_1861 Depth=1
	global_load_dwordx2 v[12:13], v27, s[4:5]
	s_add_i32 s18, s19, -8
	s_add_u32 s4, s4, 8
	s_addc_u32 s5, s5, 0
.LBB6_1880:                             ;   in Loop: Header=BB6_1861 Depth=1
	s_cmp_gt_u32 s18, 7
	s_cbranch_scc1 .LBB6_1932
; %bb.1881:                             ;   in Loop: Header=BB6_1861 Depth=1
	s_cmp_eq_u32 s18, 0
	s_cbranch_scc1 .LBB6_1938
; %bb.1882:                             ;   in Loop: Header=BB6_1861 Depth=1
	s_mov_b64 s[14:15], 0
	v_pk_mov_b32 v[14:15], 0, 0
	s_mov_b64 s[16:17], 0
.LBB6_1883:                             ;   Parent Loop BB6_1861 Depth=1
                                        ; =>  This Inner Loop Header: Depth=2
	s_add_u32 s20, s4, s16
	s_addc_u32 s21, s5, s17
	global_load_ubyte v2, v27, s[20:21]
	s_add_u32 s16, s16, 1
	s_addc_u32 s17, s17, 0
	s_waitcnt vmcnt(0)
	v_and_b32_e32 v26, 0xffff, v2
	v_lshlrev_b64 v[2:3], s14, v[26:27]
	s_add_u32 s14, s14, 8
	s_addc_u32 s15, s15, 0
	v_or_b32_e32 v14, v2, v14
	s_cmp_lg_u32 s18, s16
	v_or_b32_e32 v15, v3, v15
	s_cbranch_scc1 .LBB6_1883
; %bb.1884:                             ;   in Loop: Header=BB6_1861 Depth=1
	s_mov_b32 s19, 0
	s_cbranch_execnz .LBB6_1886
.LBB6_1885:                             ;   in Loop: Header=BB6_1861 Depth=1
	global_load_dwordx2 v[14:15], v27, s[4:5]
	s_add_i32 s19, s18, -8
	s_add_u32 s4, s4, 8
	s_addc_u32 s5, s5, 0
.LBB6_1886:                             ;   in Loop: Header=BB6_1861 Depth=1
	s_cmp_gt_u32 s19, 7
	s_cbranch_scc1 .LBB6_1933
; %bb.1887:                             ;   in Loop: Header=BB6_1861 Depth=1
	s_cmp_eq_u32 s19, 0
	s_cbranch_scc1 .LBB6_1939
; %bb.1888:                             ;   in Loop: Header=BB6_1861 Depth=1
	s_mov_b64 s[14:15], 0
	v_pk_mov_b32 v[16:17], 0, 0
	s_mov_b64 s[16:17], 0
.LBB6_1889:                             ;   Parent Loop BB6_1861 Depth=1
                                        ; =>  This Inner Loop Header: Depth=2
	s_add_u32 s20, s4, s16
	s_addc_u32 s21, s5, s17
	global_load_ubyte v2, v27, s[20:21]
	s_add_u32 s16, s16, 1
	s_addc_u32 s17, s17, 0
	s_waitcnt vmcnt(0)
	v_and_b32_e32 v26, 0xffff, v2
	v_lshlrev_b64 v[2:3], s14, v[26:27]
	s_add_u32 s14, s14, 8
	s_addc_u32 s15, s15, 0
	v_or_b32_e32 v16, v2, v16
	s_cmp_lg_u32 s19, s16
	v_or_b32_e32 v17, v3, v17
	s_cbranch_scc1 .LBB6_1889
; %bb.1890:                             ;   in Loop: Header=BB6_1861 Depth=1
	s_mov_b32 s18, 0
	s_cbranch_execnz .LBB6_1892
.LBB6_1891:                             ;   in Loop: Header=BB6_1861 Depth=1
	global_load_dwordx2 v[16:17], v27, s[4:5]
	s_add_i32 s18, s19, -8
	s_add_u32 s4, s4, 8
	s_addc_u32 s5, s5, 0
.LBB6_1892:                             ;   in Loop: Header=BB6_1861 Depth=1
	s_cmp_gt_u32 s18, 7
	s_cbranch_scc1 .LBB6_1934
; %bb.1893:                             ;   in Loop: Header=BB6_1861 Depth=1
	s_cmp_eq_u32 s18, 0
	s_cbranch_scc1 .LBB6_1940
; %bb.1894:                             ;   in Loop: Header=BB6_1861 Depth=1
	s_mov_b64 s[14:15], 0
	v_pk_mov_b32 v[18:19], 0, 0
	s_mov_b64 s[16:17], 0
.LBB6_1895:                             ;   Parent Loop BB6_1861 Depth=1
                                        ; =>  This Inner Loop Header: Depth=2
	s_add_u32 s20, s4, s16
	s_addc_u32 s21, s5, s17
	global_load_ubyte v2, v27, s[20:21]
	s_add_u32 s16, s16, 1
	s_addc_u32 s17, s17, 0
	s_waitcnt vmcnt(0)
	v_and_b32_e32 v26, 0xffff, v2
	v_lshlrev_b64 v[2:3], s14, v[26:27]
	s_add_u32 s14, s14, 8
	s_addc_u32 s15, s15, 0
	v_or_b32_e32 v18, v2, v18
	s_cmp_lg_u32 s18, s16
	v_or_b32_e32 v19, v3, v19
	s_cbranch_scc1 .LBB6_1895
; %bb.1896:                             ;   in Loop: Header=BB6_1861 Depth=1
	s_mov_b32 s19, 0
	s_cbranch_execnz .LBB6_1898
.LBB6_1897:                             ;   in Loop: Header=BB6_1861 Depth=1
	global_load_dwordx2 v[18:19], v27, s[4:5]
	s_add_i32 s19, s18, -8
	s_add_u32 s4, s4, 8
	s_addc_u32 s5, s5, 0
.LBB6_1898:                             ;   in Loop: Header=BB6_1861 Depth=1
	s_cmp_gt_u32 s19, 7
	s_cbranch_scc1 .LBB6_1935
; %bb.1899:                             ;   in Loop: Header=BB6_1861 Depth=1
	s_cmp_eq_u32 s19, 0
	s_cbranch_scc1 .LBB6_1941
; %bb.1900:                             ;   in Loop: Header=BB6_1861 Depth=1
	s_mov_b64 s[14:15], 0
	v_pk_mov_b32 v[20:21], 0, 0
	s_mov_b64 s[16:17], s[4:5]
.LBB6_1901:                             ;   Parent Loop BB6_1861 Depth=1
                                        ; =>  This Inner Loop Header: Depth=2
	global_load_ubyte v2, v27, s[16:17]
	s_add_i32 s19, s19, -1
	s_waitcnt vmcnt(0)
	v_and_b32_e32 v26, 0xffff, v2
	v_lshlrev_b64 v[2:3], s14, v[26:27]
	s_add_u32 s14, s14, 8
	s_addc_u32 s15, s15, 0
	s_add_u32 s16, s16, 1
	s_addc_u32 s17, s17, 0
	v_or_b32_e32 v20, v2, v20
	s_cmp_lg_u32 s19, 0
	v_or_b32_e32 v21, v3, v21
	s_cbranch_scc1 .LBB6_1901
; %bb.1902:                             ;   in Loop: Header=BB6_1861 Depth=1
	s_cbranch_execnz .LBB6_1904
.LBB6_1903:                             ;   in Loop: Header=BB6_1861 Depth=1
	global_load_dwordx2 v[20:21], v27, s[4:5]
.LBB6_1904:                             ;   in Loop: Header=BB6_1861 Depth=1
	v_readfirstlane_b32 s4, v31
	v_cmp_eq_u32_e64 s[4:5], s4, v31
	v_pk_mov_b32 v[2:3], 0, 0
	s_and_saveexec_b64 s[14:15], s[4:5]
	s_cbranch_execz .LBB6_1910
; %bb.1905:                             ;   in Loop: Header=BB6_1861 Depth=1
	global_load_dwordx2 v[24:25], v27, s[6:7] offset:24 glc
	s_waitcnt vmcnt(0)
	buffer_invl2
	buffer_wbinvl1_vol
	global_load_dwordx2 v[2:3], v27, s[6:7] offset:40
	global_load_dwordx2 v[22:23], v27, s[6:7]
	s_waitcnt vmcnt(1)
	v_and_b32_e32 v2, v2, v24
	v_and_b32_e32 v3, v3, v25
	v_mul_lo_u32 v3, v3, 24
	v_mul_hi_u32 v26, v2, 24
	v_mul_lo_u32 v2, v2, 24
	v_add_u32_e32 v3, v26, v3
	s_waitcnt vmcnt(0)
	v_add_co_u32_e32 v2, vcc, v22, v2
	v_addc_co_u32_e32 v3, vcc, v23, v3, vcc
	global_load_dwordx2 v[22:23], v[2:3], off glc
	s_waitcnt vmcnt(0)
	global_atomic_cmpswap_x2 v[2:3], v27, v[22:25], s[6:7] offset:24 glc
	s_waitcnt vmcnt(0)
	buffer_invl2
	buffer_wbinvl1_vol
	v_cmp_ne_u64_e32 vcc, v[2:3], v[24:25]
	s_and_saveexec_b64 s[16:17], vcc
	s_cbranch_execz .LBB6_1909
; %bb.1906:                             ;   in Loop: Header=BB6_1861 Depth=1
	s_mov_b64 s[18:19], 0
.LBB6_1907:                             ;   Parent Loop BB6_1861 Depth=1
                                        ; =>  This Inner Loop Header: Depth=2
	s_sleep 1
	global_load_dwordx2 v[22:23], v27, s[6:7] offset:40
	global_load_dwordx2 v[28:29], v27, s[6:7]
	v_pk_mov_b32 v[24:25], v[2:3], v[2:3] op_sel:[0,1]
	s_waitcnt vmcnt(1)
	v_and_b32_e32 v2, v22, v24
	s_waitcnt vmcnt(0)
	v_mad_u64_u32 v[2:3], s[20:21], v2, 24, v[28:29]
	v_and_b32_e32 v23, v23, v25
	v_mov_b32_e32 v22, v3
	v_mad_u64_u32 v[22:23], s[20:21], v23, 24, v[22:23]
	v_mov_b32_e32 v3, v22
	global_load_dwordx2 v[22:23], v[2:3], off glc
	s_waitcnt vmcnt(0)
	global_atomic_cmpswap_x2 v[2:3], v27, v[22:25], s[6:7] offset:24 glc
	s_waitcnt vmcnt(0)
	buffer_invl2
	buffer_wbinvl1_vol
	v_cmp_eq_u64_e32 vcc, v[2:3], v[24:25]
	s_or_b64 s[18:19], vcc, s[18:19]
	s_andn2_b64 exec, exec, s[18:19]
	s_cbranch_execnz .LBB6_1907
; %bb.1908:                             ;   in Loop: Header=BB6_1861 Depth=1
	s_or_b64 exec, exec, s[18:19]
.LBB6_1909:                             ;   in Loop: Header=BB6_1861 Depth=1
	s_or_b64 exec, exec, s[16:17]
.LBB6_1910:                             ;   in Loop: Header=BB6_1861 Depth=1
	s_or_b64 exec, exec, s[14:15]
	global_load_dwordx2 v[28:29], v27, s[6:7] offset:40
	global_load_dwordx4 v[22:25], v27, s[6:7]
	v_readfirstlane_b32 s14, v2
	v_readfirstlane_b32 s15, v3
	s_mov_b64 s[16:17], exec
	s_waitcnt vmcnt(1)
	v_readfirstlane_b32 s18, v28
	v_readfirstlane_b32 s19, v29
	s_and_b64 s[18:19], s[14:15], s[18:19]
	s_mul_i32 s20, s19, 24
	s_mul_hi_u32 s21, s18, 24
	s_mul_i32 s22, s18, 24
	s_add_i32 s20, s21, s20
	v_mov_b32_e32 v2, s20
	s_waitcnt vmcnt(0)
	v_add_co_u32_e32 v28, vcc, s22, v22
	v_addc_co_u32_e32 v29, vcc, v23, v2, vcc
	s_and_saveexec_b64 s[20:21], s[4:5]
	s_cbranch_execz .LBB6_1912
; %bb.1911:                             ;   in Loop: Header=BB6_1861 Depth=1
	v_pk_mov_b32 v[2:3], s[16:17], s[16:17] op_sel:[0,1]
	global_store_dwordx4 v[28:29], v[2:5], off offset:8
.LBB6_1912:                             ;   in Loop: Header=BB6_1861 Depth=1
	s_or_b64 exec, exec, s[20:21]
	s_lshl_b64 s[16:17], s[18:19], 12
	v_mov_b32_e32 v3, s17
	v_add_co_u32_e32 v2, vcc, s16, v24
	v_addc_co_u32_e32 v3, vcc, v25, v3, vcc
	v_or_b32_e32 v24, 2, v6
	v_cmp_gt_u64_e64 vcc, s[10:11], 56
	s_lshl_b32 s16, s12, 2
	v_cndmask_b32_e32 v6, v24, v6, vcc
	s_add_i32 s16, s16, 28
	s_and_b32 s16, s16, 0x1e0
	v_and_b32_e32 v6, 0xffffff1f, v6
	v_or_b32_e32 v6, s16, v6
	v_readfirstlane_b32 s16, v2
	v_readfirstlane_b32 s17, v3
	s_nop 4
	global_store_dwordx4 v30, v[6:9], s[16:17]
	global_store_dwordx4 v30, v[10:13], s[16:17] offset:16
	global_store_dwordx4 v30, v[14:17], s[16:17] offset:32
	;; [unrolled: 1-line block ×3, first 2 shown]
	s_and_saveexec_b64 s[16:17], s[4:5]
	s_cbranch_execz .LBB6_1920
; %bb.1913:                             ;   in Loop: Header=BB6_1861 Depth=1
	global_load_dwordx2 v[14:15], v27, s[6:7] offset:32 glc
	global_load_dwordx2 v[6:7], v27, s[6:7] offset:40
	v_mov_b32_e32 v12, s14
	v_mov_b32_e32 v13, s15
	s_waitcnt vmcnt(0)
	v_readfirstlane_b32 s18, v6
	v_readfirstlane_b32 s19, v7
	s_and_b64 s[18:19], s[18:19], s[14:15]
	s_mul_i32 s19, s19, 24
	s_mul_hi_u32 s20, s18, 24
	s_mul_i32 s18, s18, 24
	s_add_i32 s19, s20, s19
	v_mov_b32_e32 v6, s19
	v_add_co_u32_e32 v10, vcc, s18, v22
	v_addc_co_u32_e32 v11, vcc, v23, v6, vcc
	global_store_dwordx2 v[10:11], v[14:15], off
	buffer_wbl2
	s_waitcnt vmcnt(0)
	global_atomic_cmpswap_x2 v[8:9], v27, v[12:15], s[6:7] offset:32 glc
	s_waitcnt vmcnt(0)
	v_cmp_ne_u64_e32 vcc, v[8:9], v[14:15]
	s_and_saveexec_b64 s[18:19], vcc
	s_cbranch_execz .LBB6_1916
; %bb.1914:                             ;   in Loop: Header=BB6_1861 Depth=1
	s_mov_b64 s[20:21], 0
.LBB6_1915:                             ;   Parent Loop BB6_1861 Depth=1
                                        ; =>  This Inner Loop Header: Depth=2
	s_sleep 1
	global_store_dwordx2 v[10:11], v[8:9], off
	v_mov_b32_e32 v6, s14
	v_mov_b32_e32 v7, s15
	buffer_wbl2
	s_waitcnt vmcnt(0)
	global_atomic_cmpswap_x2 v[6:7], v27, v[6:9], s[6:7] offset:32 glc
	s_waitcnt vmcnt(0)
	v_cmp_eq_u64_e32 vcc, v[6:7], v[8:9]
	s_or_b64 s[20:21], vcc, s[20:21]
	v_pk_mov_b32 v[8:9], v[6:7], v[6:7] op_sel:[0,1]
	s_andn2_b64 exec, exec, s[20:21]
	s_cbranch_execnz .LBB6_1915
.LBB6_1916:                             ;   in Loop: Header=BB6_1861 Depth=1
	s_or_b64 exec, exec, s[18:19]
	global_load_dwordx2 v[6:7], v27, s[6:7] offset:16
	s_mov_b64 s[20:21], exec
	v_mbcnt_lo_u32_b32 v8, s20, 0
	v_mbcnt_hi_u32_b32 v8, s21, v8
	v_cmp_eq_u32_e32 vcc, 0, v8
	s_and_saveexec_b64 s[18:19], vcc
	s_cbranch_execz .LBB6_1918
; %bb.1917:                             ;   in Loop: Header=BB6_1861 Depth=1
	s_bcnt1_i32_b64 s20, s[20:21]
	v_mov_b32_e32 v26, s20
	buffer_wbl2
	s_waitcnt vmcnt(0)
	global_atomic_add_x2 v[6:7], v[26:27], off offset:8
.LBB6_1918:                             ;   in Loop: Header=BB6_1861 Depth=1
	s_or_b64 exec, exec, s[18:19]
	s_waitcnt vmcnt(0)
	global_load_dwordx2 v[8:9], v[6:7], off offset:16
	s_waitcnt vmcnt(0)
	v_cmp_eq_u64_e32 vcc, 0, v[8:9]
	s_cbranch_vccnz .LBB6_1920
; %bb.1919:                             ;   in Loop: Header=BB6_1861 Depth=1
	global_load_dword v26, v[6:7], off offset:24
	s_waitcnt vmcnt(0)
	v_and_b32_e32 v6, 0xffffff, v26
	v_readfirstlane_b32 m0, v6
	buffer_wbl2
	global_store_dwordx2 v[8:9], v[26:27], off
	s_sendmsg sendmsg(MSG_INTERRUPT)
.LBB6_1920:                             ;   in Loop: Header=BB6_1861 Depth=1
	s_or_b64 exec, exec, s[16:17]
	v_add_co_u32_e32 v2, vcc, v2, v30
	v_addc_co_u32_e32 v3, vcc, 0, v3, vcc
	s_branch .LBB6_1922
.LBB6_1921:                             ;   in Loop: Header=BB6_1861 Depth=1
	s_branch .LBB6_1926
.LBB6_1922:                             ;   Parent Loop BB6_1861 Depth=1
                                        ; =>  This Inner Loop Header: Depth=2
	v_mov_b32_e32 v6, 1
	s_and_saveexec_b64 s[16:17], s[4:5]
	s_cbranch_execz .LBB6_1924
; %bb.1923:                             ;   in Loop: Header=BB6_1922 Depth=2
	global_load_dword v6, v[28:29], off offset:20 glc
	s_waitcnt vmcnt(0)
	buffer_invl2
	buffer_wbinvl1_vol
	v_and_b32_e32 v6, 1, v6
.LBB6_1924:                             ;   in Loop: Header=BB6_1922 Depth=2
	s_or_b64 exec, exec, s[16:17]
	v_readfirstlane_b32 s16, v6
	s_cmp_eq_u32 s16, 0
	s_cbranch_scc1 .LBB6_1921
; %bb.1925:                             ;   in Loop: Header=BB6_1922 Depth=2
	s_sleep 1
	s_cbranch_execnz .LBB6_1922
.LBB6_1926:                             ;   in Loop: Header=BB6_1861 Depth=1
	global_load_dwordx4 v[6:9], v[2:3], off
	s_and_saveexec_b64 s[16:17], s[4:5]
	s_cbranch_execz .LBB6_1860
; %bb.1927:                             ;   in Loop: Header=BB6_1861 Depth=1
	global_load_dwordx2 v[2:3], v27, s[6:7] offset:40
	global_load_dwordx2 v[12:13], v27, s[6:7] offset:24 glc
	global_load_dwordx2 v[14:15], v27, s[6:7]
	s_waitcnt vmcnt(3)
	v_mov_b32_e32 v9, s15
	s_waitcnt vmcnt(2)
	v_add_co_u32_e32 v11, vcc, 1, v2
	v_addc_co_u32_e32 v16, vcc, 0, v3, vcc
	v_add_co_u32_e32 v8, vcc, s14, v11
	v_addc_co_u32_e32 v9, vcc, v16, v9, vcc
	v_cmp_eq_u64_e32 vcc, 0, v[8:9]
	v_cndmask_b32_e32 v9, v9, v16, vcc
	v_cndmask_b32_e32 v8, v8, v11, vcc
	v_and_b32_e32 v3, v9, v3
	v_and_b32_e32 v2, v8, v2
	v_mul_lo_u32 v3, v3, 24
	v_mul_hi_u32 v11, v2, 24
	v_mul_lo_u32 v2, v2, 24
	v_add_u32_e32 v3, v11, v3
	s_waitcnt vmcnt(0)
	v_add_co_u32_e32 v2, vcc, v14, v2
	v_addc_co_u32_e32 v3, vcc, v15, v3, vcc
	v_mov_b32_e32 v10, v12
	global_store_dwordx2 v[2:3], v[12:13], off
	v_mov_b32_e32 v11, v13
	buffer_wbl2
	s_waitcnt vmcnt(0)
	global_atomic_cmpswap_x2 v[10:11], v27, v[8:11], s[6:7] offset:24 glc
	s_waitcnt vmcnt(0)
	v_cmp_ne_u64_e32 vcc, v[10:11], v[12:13]
	s_and_b64 exec, exec, vcc
	s_cbranch_execz .LBB6_1860
; %bb.1928:                             ;   in Loop: Header=BB6_1861 Depth=1
	s_mov_b64 s[4:5], 0
.LBB6_1929:                             ;   Parent Loop BB6_1861 Depth=1
                                        ; =>  This Inner Loop Header: Depth=2
	s_sleep 1
	global_store_dwordx2 v[2:3], v[10:11], off
	buffer_wbl2
	s_waitcnt vmcnt(0)
	global_atomic_cmpswap_x2 v[12:13], v27, v[8:11], s[6:7] offset:24 glc
	s_waitcnt vmcnt(0)
	v_cmp_eq_u64_e32 vcc, v[12:13], v[10:11]
	s_or_b64 s[4:5], vcc, s[4:5]
	v_pk_mov_b32 v[10:11], v[12:13], v[12:13] op_sel:[0,1]
	s_andn2_b64 exec, exec, s[4:5]
	s_cbranch_execnz .LBB6_1929
	s_branch .LBB6_1860
.LBB6_1930:                             ;   in Loop: Header=BB6_1861 Depth=1
                                        ; implicit-def: $vgpr10_vgpr11
                                        ; implicit-def: $sgpr19
	s_branch .LBB6_1873
.LBB6_1931:                             ;   in Loop: Header=BB6_1861 Depth=1
                                        ; implicit-def: $sgpr18
	s_branch .LBB6_1879
.LBB6_1932:                             ;   in Loop: Header=BB6_1861 Depth=1
                                        ; implicit-def: $vgpr14_vgpr15
                                        ; implicit-def: $sgpr19
	s_branch .LBB6_1885
.LBB6_1933:                             ;   in Loop: Header=BB6_1861 Depth=1
                                        ; implicit-def: $sgpr18
	s_branch .LBB6_1891
.LBB6_1934:                             ;   in Loop: Header=BB6_1861 Depth=1
                                        ; implicit-def: $vgpr18_vgpr19
                                        ; implicit-def: $sgpr19
	s_branch .LBB6_1897
.LBB6_1935:                             ;   in Loop: Header=BB6_1861 Depth=1
	s_branch .LBB6_1903
.LBB6_1936:                             ;   in Loop: Header=BB6_1861 Depth=1
	v_pk_mov_b32 v[10:11], 0, 0
	s_mov_b32 s19, 0
	s_cbranch_execnz .LBB6_1874
	s_branch .LBB6_1873
.LBB6_1937:                             ;   in Loop: Header=BB6_1861 Depth=1
	v_pk_mov_b32 v[12:13], 0, 0
	s_mov_b32 s18, 0
	s_cbranch_execnz .LBB6_1880
	s_branch .LBB6_1879
.LBB6_1938:                             ;   in Loop: Header=BB6_1861 Depth=1
	v_pk_mov_b32 v[14:15], 0, 0
	s_mov_b32 s19, 0
	s_cbranch_execnz .LBB6_1886
	s_branch .LBB6_1885
.LBB6_1939:                             ;   in Loop: Header=BB6_1861 Depth=1
	v_pk_mov_b32 v[16:17], 0, 0
	s_mov_b32 s18, 0
	s_cbranch_execnz .LBB6_1892
	s_branch .LBB6_1891
.LBB6_1940:                             ;   in Loop: Header=BB6_1861 Depth=1
	v_pk_mov_b32 v[18:19], 0, 0
	s_mov_b32 s19, 0
	s_cbranch_execnz .LBB6_1898
	s_branch .LBB6_1897
.LBB6_1941:                             ;   in Loop: Header=BB6_1861 Depth=1
	v_pk_mov_b32 v[20:21], 0, 0
	s_cbranch_execnz .LBB6_1904
	s_branch .LBB6_1903
.LBB6_1942:
	s_mov_b64 s[4:5], 0
	s_branch .LBB6_1944
.LBB6_1943:
	s_mov_b64 s[4:5], -1
.LBB6_1944:
	s_and_b64 vcc, exec, s[4:5]
	s_cbranch_vccz .LBB6_1971
; %bb.1945:
	v_readfirstlane_b32 s4, v31
	v_cmp_eq_u32_e64 s[4:5], s4, v31
	s_waitcnt vmcnt(0)
	v_pk_mov_b32 v[8:9], 0, 0
	s_and_saveexec_b64 s[8:9], s[4:5]
	s_cbranch_execz .LBB6_1951
; %bb.1946:
	v_mov_b32_e32 v2, 0
	global_load_dwordx2 v[6:7], v2, s[6:7] offset:24 glc
	s_waitcnt vmcnt(0)
	buffer_invl2
	buffer_wbinvl1_vol
	global_load_dwordx2 v[4:5], v2, s[6:7] offset:40
	global_load_dwordx2 v[8:9], v2, s[6:7]
	s_waitcnt vmcnt(1)
	v_and_b32_e32 v3, v4, v6
	v_and_b32_e32 v4, v5, v7
	v_mul_lo_u32 v4, v4, 24
	v_mul_hi_u32 v5, v3, 24
	v_mul_lo_u32 v3, v3, 24
	v_add_u32_e32 v5, v5, v4
	s_waitcnt vmcnt(0)
	v_add_co_u32_e32 v4, vcc, v8, v3
	v_addc_co_u32_e32 v5, vcc, v9, v5, vcc
	global_load_dwordx2 v[4:5], v[4:5], off glc
	s_waitcnt vmcnt(0)
	global_atomic_cmpswap_x2 v[8:9], v2, v[4:7], s[6:7] offset:24 glc
	s_waitcnt vmcnt(0)
	buffer_invl2
	buffer_wbinvl1_vol
	v_cmp_ne_u64_e32 vcc, v[8:9], v[6:7]
	s_and_saveexec_b64 s[10:11], vcc
	s_cbranch_execz .LBB6_1950
; %bb.1947:
	s_mov_b64 s[12:13], 0
.LBB6_1948:                             ; =>This Inner Loop Header: Depth=1
	s_sleep 1
	global_load_dwordx2 v[4:5], v2, s[6:7] offset:40
	global_load_dwordx2 v[10:11], v2, s[6:7]
	v_pk_mov_b32 v[6:7], v[8:9], v[8:9] op_sel:[0,1]
	s_waitcnt vmcnt(1)
	v_and_b32_e32 v4, v4, v6
	v_and_b32_e32 v3, v5, v7
	s_waitcnt vmcnt(0)
	v_mad_u64_u32 v[4:5], s[14:15], v4, 24, v[10:11]
	v_mov_b32_e32 v8, v5
	v_mad_u64_u32 v[8:9], s[14:15], v3, 24, v[8:9]
	v_mov_b32_e32 v5, v8
	global_load_dwordx2 v[4:5], v[4:5], off glc
	s_waitcnt vmcnt(0)
	global_atomic_cmpswap_x2 v[8:9], v2, v[4:7], s[6:7] offset:24 glc
	s_waitcnt vmcnt(0)
	buffer_invl2
	buffer_wbinvl1_vol
	v_cmp_eq_u64_e32 vcc, v[8:9], v[6:7]
	s_or_b64 s[12:13], vcc, s[12:13]
	s_andn2_b64 exec, exec, s[12:13]
	s_cbranch_execnz .LBB6_1948
; %bb.1949:
	s_or_b64 exec, exec, s[12:13]
.LBB6_1950:
	s_or_b64 exec, exec, s[10:11]
.LBB6_1951:
	s_or_b64 exec, exec, s[8:9]
	v_mov_b32_e32 v2, 0
	global_load_dwordx2 v[10:11], v2, s[6:7] offset:40
	global_load_dwordx4 v[4:7], v2, s[6:7]
	v_readfirstlane_b32 s8, v8
	v_readfirstlane_b32 s9, v9
	s_mov_b64 s[10:11], exec
	s_waitcnt vmcnt(1)
	v_readfirstlane_b32 s12, v10
	v_readfirstlane_b32 s13, v11
	s_and_b64 s[12:13], s[8:9], s[12:13]
	s_mul_i32 s14, s13, 24
	s_mul_hi_u32 s15, s12, 24
	s_mul_i32 s16, s12, 24
	s_add_i32 s14, s15, s14
	v_mov_b32_e32 v3, s14
	s_waitcnt vmcnt(0)
	v_add_co_u32_e32 v8, vcc, s16, v4
	v_addc_co_u32_e32 v9, vcc, v5, v3, vcc
	s_and_saveexec_b64 s[14:15], s[4:5]
	s_cbranch_execz .LBB6_1953
; %bb.1952:
	v_pk_mov_b32 v[10:11], s[10:11], s[10:11] op_sel:[0,1]
	v_mov_b32_e32 v12, 2
	v_mov_b32_e32 v13, 1
	global_store_dwordx4 v[8:9], v[10:13], off offset:8
.LBB6_1953:
	s_or_b64 exec, exec, s[14:15]
	s_lshl_b64 s[10:11], s[12:13], 12
	v_mov_b32_e32 v3, s11
	v_add_co_u32_e32 v6, vcc, s10, v6
	v_addc_co_u32_e32 v7, vcc, v7, v3, vcc
	s_movk_i32 s10, 0xff1d
	s_mov_b32 s12, 0
	v_and_or_b32 v0, v0, s10, 34
	v_mov_b32_e32 v3, v2
	v_readfirstlane_b32 s10, v6
	v_readfirstlane_b32 s11, v7
	s_mov_b32 s13, s12
	s_mov_b32 s14, s12
	;; [unrolled: 1-line block ×3, first 2 shown]
	s_nop 1
	global_store_dwordx4 v30, v[0:3], s[10:11]
	s_nop 0
	v_pk_mov_b32 v[0:1], s[12:13], s[12:13] op_sel:[0,1]
	v_pk_mov_b32 v[2:3], s[14:15], s[14:15] op_sel:[0,1]
	global_store_dwordx4 v30, v[0:3], s[10:11] offset:16
	global_store_dwordx4 v30, v[0:3], s[10:11] offset:32
	;; [unrolled: 1-line block ×3, first 2 shown]
	s_and_saveexec_b64 s[10:11], s[4:5]
	s_cbranch_execz .LBB6_1961
; %bb.1954:
	v_mov_b32_e32 v6, 0
	global_load_dwordx2 v[12:13], v6, s[6:7] offset:32 glc
	global_load_dwordx2 v[0:1], v6, s[6:7] offset:40
	v_mov_b32_e32 v10, s8
	v_mov_b32_e32 v11, s9
	s_waitcnt vmcnt(0)
	v_readfirstlane_b32 s12, v0
	v_readfirstlane_b32 s13, v1
	s_and_b64 s[12:13], s[12:13], s[8:9]
	s_mul_i32 s13, s13, 24
	s_mul_hi_u32 s14, s12, 24
	s_mul_i32 s12, s12, 24
	s_add_i32 s13, s14, s13
	v_mov_b32_e32 v0, s13
	v_add_co_u32_e32 v4, vcc, s12, v4
	v_addc_co_u32_e32 v5, vcc, v5, v0, vcc
	global_store_dwordx2 v[4:5], v[12:13], off
	buffer_wbl2
	s_waitcnt vmcnt(0)
	global_atomic_cmpswap_x2 v[2:3], v6, v[10:13], s[6:7] offset:32 glc
	s_waitcnt vmcnt(0)
	v_cmp_ne_u64_e32 vcc, v[2:3], v[12:13]
	s_and_saveexec_b64 s[12:13], vcc
	s_cbranch_execz .LBB6_1957
; %bb.1955:
	s_mov_b64 s[14:15], 0
.LBB6_1956:                             ; =>This Inner Loop Header: Depth=1
	s_sleep 1
	global_store_dwordx2 v[4:5], v[2:3], off
	v_mov_b32_e32 v0, s8
	v_mov_b32_e32 v1, s9
	buffer_wbl2
	s_waitcnt vmcnt(0)
	global_atomic_cmpswap_x2 v[0:1], v6, v[0:3], s[6:7] offset:32 glc
	s_waitcnt vmcnt(0)
	v_cmp_eq_u64_e32 vcc, v[0:1], v[2:3]
	s_or_b64 s[14:15], vcc, s[14:15]
	v_pk_mov_b32 v[2:3], v[0:1], v[0:1] op_sel:[0,1]
	s_andn2_b64 exec, exec, s[14:15]
	s_cbranch_execnz .LBB6_1956
.LBB6_1957:
	s_or_b64 exec, exec, s[12:13]
	v_mov_b32_e32 v3, 0
	global_load_dwordx2 v[0:1], v3, s[6:7] offset:16
	s_mov_b64 s[12:13], exec
	v_mbcnt_lo_u32_b32 v2, s12, 0
	v_mbcnt_hi_u32_b32 v2, s13, v2
	v_cmp_eq_u32_e32 vcc, 0, v2
	s_and_saveexec_b64 s[14:15], vcc
	s_cbranch_execz .LBB6_1959
; %bb.1958:
	s_bcnt1_i32_b64 s12, s[12:13]
	v_mov_b32_e32 v2, s12
	buffer_wbl2
	s_waitcnt vmcnt(0)
	global_atomic_add_x2 v[0:1], v[2:3], off offset:8
.LBB6_1959:
	s_or_b64 exec, exec, s[14:15]
	s_waitcnt vmcnt(0)
	global_load_dwordx2 v[2:3], v[0:1], off offset:16
	s_waitcnt vmcnt(0)
	v_cmp_eq_u64_e32 vcc, 0, v[2:3]
	s_cbranch_vccnz .LBB6_1961
; %bb.1960:
	global_load_dword v0, v[0:1], off offset:24
	v_mov_b32_e32 v1, 0
	buffer_wbl2
	s_waitcnt vmcnt(0)
	global_store_dwordx2 v[2:3], v[0:1], off
	v_and_b32_e32 v0, 0xffffff, v0
	v_readfirstlane_b32 m0, v0
	s_sendmsg sendmsg(MSG_INTERRUPT)
.LBB6_1961:
	s_or_b64 exec, exec, s[10:11]
	s_branch .LBB6_1963
.LBB6_1962:
	s_branch .LBB6_1967
.LBB6_1963:                             ; =>This Inner Loop Header: Depth=1
	v_mov_b32_e32 v0, 1
	s_and_saveexec_b64 s[10:11], s[4:5]
	s_cbranch_execz .LBB6_1965
; %bb.1964:                             ;   in Loop: Header=BB6_1963 Depth=1
	global_load_dword v0, v[8:9], off offset:20 glc
	s_waitcnt vmcnt(0)
	buffer_invl2
	buffer_wbinvl1_vol
	v_and_b32_e32 v0, 1, v0
.LBB6_1965:                             ;   in Loop: Header=BB6_1963 Depth=1
	s_or_b64 exec, exec, s[10:11]
	v_readfirstlane_b32 s10, v0
	s_cmp_eq_u32 s10, 0
	s_cbranch_scc1 .LBB6_1962
; %bb.1966:                             ;   in Loop: Header=BB6_1963 Depth=1
	s_sleep 1
	s_cbranch_execnz .LBB6_1963
.LBB6_1967:
	s_and_saveexec_b64 s[10:11], s[4:5]
	s_cbranch_execz .LBB6_1970
; %bb.1968:
	v_mov_b32_e32 v6, 0
	global_load_dwordx2 v[4:5], v6, s[6:7] offset:40
	global_load_dwordx2 v[8:9], v6, s[6:7] offset:24 glc
	global_load_dwordx2 v[10:11], v6, s[6:7]
	v_mov_b32_e32 v1, s9
	s_mov_b64 s[4:5], 0
	s_waitcnt vmcnt(2)
	v_add_co_u32_e32 v3, vcc, 1, v4
	v_addc_co_u32_e32 v7, vcc, 0, v5, vcc
	v_add_co_u32_e32 v0, vcc, s8, v3
	v_addc_co_u32_e32 v1, vcc, v7, v1, vcc
	v_cmp_eq_u64_e32 vcc, 0, v[0:1]
	v_cndmask_b32_e32 v1, v1, v7, vcc
	v_cndmask_b32_e32 v0, v0, v3, vcc
	v_and_b32_e32 v3, v1, v5
	v_and_b32_e32 v4, v0, v4
	v_mul_lo_u32 v3, v3, 24
	v_mul_hi_u32 v5, v4, 24
	v_mul_lo_u32 v4, v4, 24
	v_add_u32_e32 v3, v5, v3
	s_waitcnt vmcnt(0)
	v_add_co_u32_e32 v4, vcc, v10, v4
	v_addc_co_u32_e32 v5, vcc, v11, v3, vcc
	v_mov_b32_e32 v2, v8
	global_store_dwordx2 v[4:5], v[8:9], off
	v_mov_b32_e32 v3, v9
	buffer_wbl2
	s_waitcnt vmcnt(0)
	global_atomic_cmpswap_x2 v[2:3], v6, v[0:3], s[6:7] offset:24 glc
	s_waitcnt vmcnt(0)
	v_cmp_ne_u64_e32 vcc, v[2:3], v[8:9]
	s_and_b64 exec, exec, vcc
	s_cbranch_execz .LBB6_1970
.LBB6_1969:                             ; =>This Inner Loop Header: Depth=1
	s_sleep 1
	global_store_dwordx2 v[4:5], v[2:3], off
	buffer_wbl2
	s_waitcnt vmcnt(0)
	global_atomic_cmpswap_x2 v[8:9], v6, v[0:3], s[6:7] offset:24 glc
	s_waitcnt vmcnt(0)
	v_cmp_eq_u64_e32 vcc, v[8:9], v[2:3]
	s_or_b64 s[4:5], vcc, s[4:5]
	v_pk_mov_b32 v[2:3], v[8:9], v[8:9] op_sel:[0,1]
	s_andn2_b64 exec, exec, s[4:5]
	s_cbranch_execnz .LBB6_1969
.LBB6_1970:
	s_or_b64 exec, exec, s[10:11]
.LBB6_1971:
	s_getpc_b64 s[4:5]
	s_add_u32 s4, s4, .str.29@rel32@lo+4
	s_addc_u32 s5, s5, .str.29@rel32@hi+12
	s_getpc_b64 s[6:7]
	s_add_u32 s6, s6, .str.19@rel32@lo+4
	s_addc_u32 s7, s7, .str.19@rel32@hi+12
	s_getpc_b64 s[10:11]
	s_add_u32 s10, s10, __PRETTY_FUNCTION__._ZN7VecsMemIjLi8192EE5fetchEi@rel32@lo+4
	s_addc_u32 s11, s11, __PRETTY_FUNCTION__._ZN7VecsMemIjLi8192EE5fetchEi@rel32@hi+12
	s_mov_b64 s[8:9], s[48:49]
	s_waitcnt vmcnt(0)
	v_mov_b32_e32 v0, s4
	v_mov_b32_e32 v1, s5
	;; [unrolled: 1-line block ×7, first 2 shown]
	s_getpc_b64 s[12:13]
	s_add_u32 s12, s12, __assert_fail@rel32@lo+4
	s_addc_u32 s13, s13, __assert_fail@rel32@hi+12
	s_swappc_b64 s[30:31], s[12:13]
	s_or_b64 s[58:59], s[58:59], exec
                                        ; implicit-def: $vgpr40
.LBB6_1972:
	s_or_b64 exec, exec, s[26:27]
	s_andn2_b64 s[4:5], s[28:29], exec
	s_and_b64 s[6:7], s[58:59], exec
	s_or_b64 s[38:39], s[4:5], s[6:7]
.LBB6_1973:
	s_andn2_saveexec_b64 s[26:27], s[54:55]
	s_cbranch_execz .LBB6_1975
; %bb.1974:
	s_getpc_b64 s[4:5]
	s_add_u32 s4, s4, .str.38@rel32@lo+4
	s_addc_u32 s5, s5, .str.38@rel32@hi+12
	s_getpc_b64 s[6:7]
	s_add_u32 s6, s6, .str.31@rel32@lo+4
	s_addc_u32 s7, s7, .str.31@rel32@hi+12
	s_getpc_b64 s[10:11]
	s_add_u32 s10, s10, __PRETTY_FUNCTION__._ZN3sop17sopDivideInternalEPNS_3SopES1_S1_S1_P7VecsMemIjLi8192EE@rel32@lo+4
	s_addc_u32 s11, s11, __PRETTY_FUNCTION__._ZN3sop17sopDivideInternalEPNS_3SopES1_S1_S1_P7VecsMemIjLi8192EE@rel32@hi+12
	s_mov_b64 s[8:9], s[48:49]
	v_mov_b32_e32 v0, s4
	v_mov_b32_e32 v1, s5
	s_waitcnt vmcnt(0) lgkmcnt(0)
	v_mov_b32_e32 v2, s6
	v_mov_b32_e32 v3, s7
	;; [unrolled: 1-line block ×5, first 2 shown]
	s_getpc_b64 s[12:13]
	s_add_u32 s12, s12, __assert_fail@rel32@lo+4
	s_addc_u32 s13, s13, __assert_fail@rel32@hi+12
	s_swappc_b64 s[30:31], s[12:13]
	s_or_b64 s[38:39], s[38:39], exec
                                        ; implicit-def: $vgpr40
.LBB6_1975:
	s_or_b64 exec, exec, s[26:27]
	s_andn2_b64 s[4:5], s[28:29], exec
	s_and_b64 s[6:7], s[38:39], exec
	s_or_b64 s[28:29], s[4:5], s[6:7]
.LBB6_1976:
	s_or_b64 exec, exec, s[46:47]
	s_andn2_b64 s[4:5], s[50:51], exec
	s_and_b64 s[6:7], s[28:29], exec
	s_or_b64 s[26:27], s[4:5], s[6:7]
.LBB6_1977:
	s_andn2_saveexec_b64 s[28:29], s[36:37]
	s_cbranch_execz .LBB6_2116
; %bb.1978:
	s_load_dwordx2 s[6:7], s[48:49], 0x50
	v_mbcnt_lo_u32_b32 v0, -1, 0
	v_mbcnt_hi_u32_b32 v31, -1, v0
	v_readfirstlane_b32 s4, v31
	v_cmp_eq_u32_e64 s[4:5], s4, v31
	v_pk_mov_b32 v[6:7], 0, 0
	s_and_saveexec_b64 s[8:9], s[4:5]
	s_cbranch_execz .LBB6_1984
; %bb.1979:
	v_mov_b32_e32 v0, 0
	s_waitcnt lgkmcnt(0)
	global_load_dwordx2 v[4:5], v0, s[6:7] offset:24 glc
	s_waitcnt vmcnt(0)
	buffer_invl2
	buffer_wbinvl1_vol
	global_load_dwordx2 v[2:3], v0, s[6:7] offset:40
	global_load_dwordx2 v[6:7], v0, s[6:7]
	s_waitcnt vmcnt(1)
	v_and_b32_e32 v1, v2, v4
	v_and_b32_e32 v2, v3, v5
	v_mul_lo_u32 v2, v2, 24
	v_mul_hi_u32 v3, v1, 24
	v_mul_lo_u32 v1, v1, 24
	v_add_u32_e32 v3, v3, v2
	s_waitcnt vmcnt(0)
	v_add_co_u32_e32 v2, vcc, v6, v1
	v_addc_co_u32_e32 v3, vcc, v7, v3, vcc
	global_load_dwordx2 v[2:3], v[2:3], off glc
	s_waitcnt vmcnt(0)
	global_atomic_cmpswap_x2 v[6:7], v0, v[2:5], s[6:7] offset:24 glc
	s_waitcnt vmcnt(0)
	buffer_invl2
	buffer_wbinvl1_vol
	v_cmp_ne_u64_e32 vcc, v[6:7], v[4:5]
	s_and_saveexec_b64 s[10:11], vcc
	s_cbranch_execz .LBB6_1983
; %bb.1980:
	s_mov_b64 s[12:13], 0
.LBB6_1981:                             ; =>This Inner Loop Header: Depth=1
	s_sleep 1
	global_load_dwordx2 v[2:3], v0, s[6:7] offset:40
	global_load_dwordx2 v[8:9], v0, s[6:7]
	v_pk_mov_b32 v[4:5], v[6:7], v[6:7] op_sel:[0,1]
	s_waitcnt vmcnt(1)
	v_and_b32_e32 v2, v2, v4
	v_and_b32_e32 v1, v3, v5
	s_waitcnt vmcnt(0)
	v_mad_u64_u32 v[2:3], s[14:15], v2, 24, v[8:9]
	v_mov_b32_e32 v6, v3
	v_mad_u64_u32 v[6:7], s[14:15], v1, 24, v[6:7]
	v_mov_b32_e32 v3, v6
	global_load_dwordx2 v[2:3], v[2:3], off glc
	s_waitcnt vmcnt(0)
	global_atomic_cmpswap_x2 v[6:7], v0, v[2:5], s[6:7] offset:24 glc
	s_waitcnt vmcnt(0)
	buffer_invl2
	buffer_wbinvl1_vol
	v_cmp_eq_u64_e32 vcc, v[6:7], v[4:5]
	s_or_b64 s[12:13], vcc, s[12:13]
	s_andn2_b64 exec, exec, s[12:13]
	s_cbranch_execnz .LBB6_1981
; %bb.1982:
	s_or_b64 exec, exec, s[12:13]
.LBB6_1983:
	s_or_b64 exec, exec, s[10:11]
.LBB6_1984:
	s_or_b64 exec, exec, s[8:9]
	v_mov_b32_e32 v5, 0
	s_waitcnt lgkmcnt(0)
	global_load_dwordx2 v[8:9], v5, s[6:7] offset:40
	global_load_dwordx4 v[0:3], v5, s[6:7]
	v_readfirstlane_b32 s8, v6
	v_readfirstlane_b32 s9, v7
	s_mov_b64 s[10:11], exec
	s_waitcnt vmcnt(0)
	v_readfirstlane_b32 s12, v8
	v_readfirstlane_b32 s13, v9
	s_and_b64 s[12:13], s[8:9], s[12:13]
	s_mul_i32 s14, s13, 24
	s_mul_hi_u32 s15, s12, 24
	s_mul_i32 s16, s12, 24
	s_add_i32 s14, s15, s14
	v_mov_b32_e32 v4, s14
	v_add_co_u32_e32 v8, vcc, s16, v0
	v_addc_co_u32_e32 v9, vcc, v1, v4, vcc
	s_and_saveexec_b64 s[14:15], s[4:5]
	s_cbranch_execz .LBB6_1986
; %bb.1985:
	v_pk_mov_b32 v[10:11], s[10:11], s[10:11] op_sel:[0,1]
	v_mov_b32_e32 v12, 2
	v_mov_b32_e32 v13, 1
	global_store_dwordx4 v[8:9], v[10:13], off offset:8
.LBB6_1986:
	s_or_b64 exec, exec, s[14:15]
	s_lshl_b64 s[10:11], s[12:13], 12
	v_mov_b32_e32 v4, s11
	v_add_co_u32_e32 v2, vcc, s10, v2
	v_addc_co_u32_e32 v3, vcc, v3, v4, vcc
	s_mov_b32 s12, 0
	v_lshlrev_b32_e32 v30, 6, v31
	v_add_co_u32_e32 v10, vcc, v2, v30
	v_mov_b32_e32 v4, 33
	v_mov_b32_e32 v6, v5
	v_mov_b32_e32 v7, v5
	v_readfirstlane_b32 s10, v2
	v_readfirstlane_b32 s11, v3
	s_mov_b32 s13, s12
	v_addc_co_u32_e32 v11, vcc, 0, v3, vcc
	s_mov_b32 s14, s12
	s_mov_b32 s15, s12
	s_nop 0
	global_store_dwordx4 v30, v[4:7], s[10:11]
	v_pk_mov_b32 v[2:3], s[12:13], s[12:13] op_sel:[0,1]
	v_pk_mov_b32 v[4:5], s[14:15], s[14:15] op_sel:[0,1]
	global_store_dwordx4 v30, v[2:5], s[10:11] offset:16
	global_store_dwordx4 v30, v[2:5], s[10:11] offset:32
	;; [unrolled: 1-line block ×3, first 2 shown]
	s_and_saveexec_b64 s[10:11], s[4:5]
	s_cbranch_execz .LBB6_1994
; %bb.1987:
	v_mov_b32_e32 v6, 0
	global_load_dwordx2 v[14:15], v6, s[6:7] offset:32 glc
	global_load_dwordx2 v[2:3], v6, s[6:7] offset:40
	v_mov_b32_e32 v12, s8
	v_mov_b32_e32 v13, s9
	s_waitcnt vmcnt(0)
	v_and_b32_e32 v2, s8, v2
	v_and_b32_e32 v3, s9, v3
	v_mul_lo_u32 v3, v3, 24
	v_mul_hi_u32 v4, v2, 24
	v_mul_lo_u32 v2, v2, 24
	v_add_u32_e32 v3, v4, v3
	v_add_co_u32_e32 v4, vcc, v0, v2
	v_addc_co_u32_e32 v5, vcc, v1, v3, vcc
	global_store_dwordx2 v[4:5], v[14:15], off
	buffer_wbl2
	s_waitcnt vmcnt(0)
	global_atomic_cmpswap_x2 v[2:3], v6, v[12:15], s[6:7] offset:32 glc
	s_waitcnt vmcnt(0)
	v_cmp_ne_u64_e32 vcc, v[2:3], v[14:15]
	s_and_saveexec_b64 s[12:13], vcc
	s_cbranch_execz .LBB6_1990
; %bb.1988:
	s_mov_b64 s[14:15], 0
.LBB6_1989:                             ; =>This Inner Loop Header: Depth=1
	s_sleep 1
	global_store_dwordx2 v[4:5], v[2:3], off
	v_mov_b32_e32 v0, s8
	v_mov_b32_e32 v1, s9
	buffer_wbl2
	s_waitcnt vmcnt(0)
	global_atomic_cmpswap_x2 v[0:1], v6, v[0:3], s[6:7] offset:32 glc
	s_waitcnt vmcnt(0)
	v_cmp_eq_u64_e32 vcc, v[0:1], v[2:3]
	s_or_b64 s[14:15], vcc, s[14:15]
	v_pk_mov_b32 v[2:3], v[0:1], v[0:1] op_sel:[0,1]
	s_andn2_b64 exec, exec, s[14:15]
	s_cbranch_execnz .LBB6_1989
.LBB6_1990:
	s_or_b64 exec, exec, s[12:13]
	v_mov_b32_e32 v3, 0
	global_load_dwordx2 v[0:1], v3, s[6:7] offset:16
	s_mov_b64 s[12:13], exec
	v_mbcnt_lo_u32_b32 v2, s12, 0
	v_mbcnt_hi_u32_b32 v2, s13, v2
	v_cmp_eq_u32_e32 vcc, 0, v2
	s_and_saveexec_b64 s[14:15], vcc
	s_cbranch_execz .LBB6_1992
; %bb.1991:
	s_bcnt1_i32_b64 s12, s[12:13]
	v_mov_b32_e32 v2, s12
	buffer_wbl2
	s_waitcnt vmcnt(0)
	global_atomic_add_x2 v[0:1], v[2:3], off offset:8
.LBB6_1992:
	s_or_b64 exec, exec, s[14:15]
	s_waitcnt vmcnt(0)
	global_load_dwordx2 v[2:3], v[0:1], off offset:16
	s_waitcnt vmcnt(0)
	v_cmp_eq_u64_e32 vcc, 0, v[2:3]
	s_cbranch_vccnz .LBB6_1994
; %bb.1993:
	global_load_dword v0, v[0:1], off offset:24
	v_mov_b32_e32 v1, 0
	buffer_wbl2
	s_waitcnt vmcnt(0)
	global_store_dwordx2 v[2:3], v[0:1], off
	v_and_b32_e32 v0, 0xffffff, v0
	v_readfirstlane_b32 m0, v0
	s_sendmsg sendmsg(MSG_INTERRUPT)
.LBB6_1994:
	s_or_b64 exec, exec, s[10:11]
	s_branch .LBB6_1996
.LBB6_1995:
	s_branch .LBB6_2000
.LBB6_1996:                             ; =>This Inner Loop Header: Depth=1
	v_mov_b32_e32 v0, 1
	s_and_saveexec_b64 s[10:11], s[4:5]
	s_cbranch_execz .LBB6_1998
; %bb.1997:                             ;   in Loop: Header=BB6_1996 Depth=1
	global_load_dword v0, v[8:9], off offset:20 glc
	s_waitcnt vmcnt(0)
	buffer_invl2
	buffer_wbinvl1_vol
	v_and_b32_e32 v0, 1, v0
.LBB6_1998:                             ;   in Loop: Header=BB6_1996 Depth=1
	s_or_b64 exec, exec, s[10:11]
	v_readfirstlane_b32 s10, v0
	s_cmp_eq_u32 s10, 0
	s_cbranch_scc1 .LBB6_1995
; %bb.1999:                             ;   in Loop: Header=BB6_1996 Depth=1
	s_sleep 1
	s_cbranch_execnz .LBB6_1996
.LBB6_2000:
	global_load_dwordx2 v[0:1], v[10:11], off
	s_and_saveexec_b64 s[10:11], s[4:5]
	s_cbranch_execz .LBB6_2003
; %bb.2001:
	v_mov_b32_e32 v8, 0
	global_load_dwordx2 v[6:7], v8, s[6:7] offset:40
	global_load_dwordx2 v[10:11], v8, s[6:7] offset:24 glc
	global_load_dwordx2 v[12:13], v8, s[6:7]
	v_mov_b32_e32 v3, s9
	s_mov_b64 s[4:5], 0
	s_waitcnt vmcnt(2)
	v_add_co_u32_e32 v5, vcc, 1, v6
	v_addc_co_u32_e32 v9, vcc, 0, v7, vcc
	v_add_co_u32_e32 v2, vcc, s8, v5
	v_addc_co_u32_e32 v3, vcc, v9, v3, vcc
	v_cmp_eq_u64_e32 vcc, 0, v[2:3]
	v_cndmask_b32_e32 v3, v3, v9, vcc
	v_cndmask_b32_e32 v2, v2, v5, vcc
	v_and_b32_e32 v5, v3, v7
	v_and_b32_e32 v6, v2, v6
	v_mul_lo_u32 v5, v5, 24
	v_mul_hi_u32 v7, v6, 24
	v_mul_lo_u32 v6, v6, 24
	v_add_u32_e32 v5, v7, v5
	s_waitcnt vmcnt(0)
	v_add_co_u32_e32 v6, vcc, v12, v6
	v_addc_co_u32_e32 v7, vcc, v13, v5, vcc
	v_mov_b32_e32 v4, v10
	global_store_dwordx2 v[6:7], v[10:11], off
	v_mov_b32_e32 v5, v11
	buffer_wbl2
	s_waitcnt vmcnt(0)
	global_atomic_cmpswap_x2 v[4:5], v8, v[2:5], s[6:7] offset:24 glc
	s_waitcnt vmcnt(0)
	v_cmp_ne_u64_e32 vcc, v[4:5], v[10:11]
	s_and_b64 exec, exec, vcc
	s_cbranch_execz .LBB6_2003
.LBB6_2002:                             ; =>This Inner Loop Header: Depth=1
	s_sleep 1
	global_store_dwordx2 v[6:7], v[4:5], off
	buffer_wbl2
	s_waitcnt vmcnt(0)
	global_atomic_cmpswap_x2 v[10:11], v8, v[2:5], s[6:7] offset:24 glc
	s_waitcnt vmcnt(0)
	v_cmp_eq_u64_e32 vcc, v[10:11], v[4:5]
	s_or_b64 s[4:5], vcc, s[4:5]
	v_pk_mov_b32 v[4:5], v[10:11], v[10:11] op_sel:[0,1]
	s_andn2_b64 exec, exec, s[4:5]
	s_cbranch_execnz .LBB6_2002
.LBB6_2003:
	s_or_b64 exec, exec, s[10:11]
	s_getpc_b64 s[8:9]
	s_add_u32 s8, s8, .str.28@rel32@lo+4
	s_addc_u32 s9, s9, .str.28@rel32@hi+12
	s_cmp_lg_u64 s[8:9], 0
	s_cbranch_scc0 .LBB6_2088
; %bb.2004:
	s_waitcnt vmcnt(0)
	v_and_b32_e32 v6, -3, v0
	v_mov_b32_e32 v7, v1
	s_mov_b64 s[10:11], 35
	v_mov_b32_e32 v27, 0
	v_mov_b32_e32 v4, 2
	;; [unrolled: 1-line block ×3, first 2 shown]
	s_branch .LBB6_2006
.LBB6_2005:                             ;   in Loop: Header=BB6_2006 Depth=1
	s_or_b64 exec, exec, s[16:17]
	s_sub_u32 s10, s10, s12
	s_subb_u32 s11, s11, s13
	s_add_u32 s8, s8, s12
	s_addc_u32 s9, s9, s13
	s_cmp_lg_u64 s[10:11], 0
	s_cbranch_scc0 .LBB6_2087
.LBB6_2006:                             ; =>This Loop Header: Depth=1
                                        ;     Child Loop BB6_2009 Depth 2
                                        ;     Child Loop BB6_2016 Depth 2
	;; [unrolled: 1-line block ×11, first 2 shown]
	v_cmp_lt_u64_e64 s[4:5], s[10:11], 56
	s_and_b64 s[4:5], s[4:5], exec
	v_cmp_gt_u64_e64 s[4:5], s[10:11], 7
	s_cselect_b32 s13, s11, 0
	s_cselect_b32 s12, s10, 56
	s_and_b64 vcc, exec, s[4:5]
	s_cbranch_vccnz .LBB6_2011
; %bb.2007:                             ;   in Loop: Header=BB6_2006 Depth=1
	s_mov_b64 s[4:5], 0
	s_cmp_eq_u64 s[10:11], 0
	s_waitcnt vmcnt(0)
	v_pk_mov_b32 v[8:9], 0, 0
	s_cbranch_scc1 .LBB6_2010
; %bb.2008:                             ;   in Loop: Header=BB6_2006 Depth=1
	s_lshl_b64 s[14:15], s[12:13], 3
	s_mov_b64 s[16:17], 0
	v_pk_mov_b32 v[8:9], 0, 0
	s_mov_b64 s[18:19], s[8:9]
.LBB6_2009:                             ;   Parent Loop BB6_2006 Depth=1
                                        ; =>  This Inner Loop Header: Depth=2
	global_load_ubyte v2, v27, s[18:19]
	s_waitcnt vmcnt(0)
	v_and_b32_e32 v26, 0xffff, v2
	v_lshlrev_b64 v[2:3], s16, v[26:27]
	s_add_u32 s16, s16, 8
	s_addc_u32 s17, s17, 0
	s_add_u32 s18, s18, 1
	s_addc_u32 s19, s19, 0
	v_or_b32_e32 v8, v2, v8
	s_cmp_lg_u32 s14, s16
	v_or_b32_e32 v9, v3, v9
	s_cbranch_scc1 .LBB6_2009
.LBB6_2010:                             ;   in Loop: Header=BB6_2006 Depth=1
	s_mov_b32 s18, 0
	s_andn2_b64 vcc, exec, s[4:5]
	s_mov_b64 s[4:5], s[8:9]
	s_cbranch_vccz .LBB6_2012
	s_branch .LBB6_2013
.LBB6_2011:                             ;   in Loop: Header=BB6_2006 Depth=1
                                        ; implicit-def: $sgpr18
	s_mov_b64 s[4:5], s[8:9]
.LBB6_2012:                             ;   in Loop: Header=BB6_2006 Depth=1
	global_load_dwordx2 v[8:9], v27, s[8:9]
	s_add_i32 s18, s12, -8
	s_add_u32 s4, s8, 8
	s_addc_u32 s5, s9, 0
.LBB6_2013:                             ;   in Loop: Header=BB6_2006 Depth=1
	s_cmp_gt_u32 s18, 7
	s_cbranch_scc1 .LBB6_2075
; %bb.2014:                             ;   in Loop: Header=BB6_2006 Depth=1
	s_cmp_eq_u32 s18, 0
	s_cbranch_scc1 .LBB6_2081
; %bb.2015:                             ;   in Loop: Header=BB6_2006 Depth=1
	s_mov_b64 s[14:15], 0
	v_pk_mov_b32 v[10:11], 0, 0
	s_mov_b64 s[16:17], 0
.LBB6_2016:                             ;   Parent Loop BB6_2006 Depth=1
                                        ; =>  This Inner Loop Header: Depth=2
	s_add_u32 s20, s4, s16
	s_addc_u32 s21, s5, s17
	global_load_ubyte v2, v27, s[20:21]
	s_add_u32 s16, s16, 1
	s_addc_u32 s17, s17, 0
	s_waitcnt vmcnt(0)
	v_and_b32_e32 v26, 0xffff, v2
	v_lshlrev_b64 v[2:3], s14, v[26:27]
	s_add_u32 s14, s14, 8
	s_addc_u32 s15, s15, 0
	v_or_b32_e32 v10, v2, v10
	s_cmp_lg_u32 s18, s16
	v_or_b32_e32 v11, v3, v11
	s_cbranch_scc1 .LBB6_2016
; %bb.2017:                             ;   in Loop: Header=BB6_2006 Depth=1
	s_mov_b32 s19, 0
	s_cbranch_execnz .LBB6_2019
.LBB6_2018:                             ;   in Loop: Header=BB6_2006 Depth=1
	global_load_dwordx2 v[10:11], v27, s[4:5]
	s_add_i32 s19, s18, -8
	s_add_u32 s4, s4, 8
	s_addc_u32 s5, s5, 0
.LBB6_2019:                             ;   in Loop: Header=BB6_2006 Depth=1
	s_cmp_gt_u32 s19, 7
	s_cbranch_scc1 .LBB6_2076
; %bb.2020:                             ;   in Loop: Header=BB6_2006 Depth=1
	s_cmp_eq_u32 s19, 0
	s_cbranch_scc1 .LBB6_2082
; %bb.2021:                             ;   in Loop: Header=BB6_2006 Depth=1
	s_mov_b64 s[14:15], 0
	v_pk_mov_b32 v[12:13], 0, 0
	s_mov_b64 s[16:17], 0
.LBB6_2022:                             ;   Parent Loop BB6_2006 Depth=1
                                        ; =>  This Inner Loop Header: Depth=2
	s_add_u32 s20, s4, s16
	s_addc_u32 s21, s5, s17
	global_load_ubyte v2, v27, s[20:21]
	s_add_u32 s16, s16, 1
	s_addc_u32 s17, s17, 0
	s_waitcnt vmcnt(0)
	v_and_b32_e32 v26, 0xffff, v2
	v_lshlrev_b64 v[2:3], s14, v[26:27]
	s_add_u32 s14, s14, 8
	s_addc_u32 s15, s15, 0
	v_or_b32_e32 v12, v2, v12
	s_cmp_lg_u32 s19, s16
	v_or_b32_e32 v13, v3, v13
	s_cbranch_scc1 .LBB6_2022
; %bb.2023:                             ;   in Loop: Header=BB6_2006 Depth=1
	s_mov_b32 s18, 0
	s_cbranch_execnz .LBB6_2025
.LBB6_2024:                             ;   in Loop: Header=BB6_2006 Depth=1
	global_load_dwordx2 v[12:13], v27, s[4:5]
	s_add_i32 s18, s19, -8
	s_add_u32 s4, s4, 8
	s_addc_u32 s5, s5, 0
.LBB6_2025:                             ;   in Loop: Header=BB6_2006 Depth=1
	s_cmp_gt_u32 s18, 7
	s_cbranch_scc1 .LBB6_2077
; %bb.2026:                             ;   in Loop: Header=BB6_2006 Depth=1
	s_cmp_eq_u32 s18, 0
	s_cbranch_scc1 .LBB6_2083
; %bb.2027:                             ;   in Loop: Header=BB6_2006 Depth=1
	s_mov_b64 s[14:15], 0
	v_pk_mov_b32 v[14:15], 0, 0
	s_mov_b64 s[16:17], 0
.LBB6_2028:                             ;   Parent Loop BB6_2006 Depth=1
                                        ; =>  This Inner Loop Header: Depth=2
	s_add_u32 s20, s4, s16
	s_addc_u32 s21, s5, s17
	global_load_ubyte v2, v27, s[20:21]
	s_add_u32 s16, s16, 1
	s_addc_u32 s17, s17, 0
	s_waitcnt vmcnt(0)
	v_and_b32_e32 v26, 0xffff, v2
	v_lshlrev_b64 v[2:3], s14, v[26:27]
	s_add_u32 s14, s14, 8
	s_addc_u32 s15, s15, 0
	v_or_b32_e32 v14, v2, v14
	s_cmp_lg_u32 s18, s16
	v_or_b32_e32 v15, v3, v15
	s_cbranch_scc1 .LBB6_2028
; %bb.2029:                             ;   in Loop: Header=BB6_2006 Depth=1
	s_mov_b32 s19, 0
	s_cbranch_execnz .LBB6_2031
.LBB6_2030:                             ;   in Loop: Header=BB6_2006 Depth=1
	global_load_dwordx2 v[14:15], v27, s[4:5]
	s_add_i32 s19, s18, -8
	s_add_u32 s4, s4, 8
	s_addc_u32 s5, s5, 0
.LBB6_2031:                             ;   in Loop: Header=BB6_2006 Depth=1
	s_cmp_gt_u32 s19, 7
	s_cbranch_scc1 .LBB6_2078
; %bb.2032:                             ;   in Loop: Header=BB6_2006 Depth=1
	s_cmp_eq_u32 s19, 0
	s_cbranch_scc1 .LBB6_2084
; %bb.2033:                             ;   in Loop: Header=BB6_2006 Depth=1
	s_mov_b64 s[14:15], 0
	v_pk_mov_b32 v[16:17], 0, 0
	s_mov_b64 s[16:17], 0
.LBB6_2034:                             ;   Parent Loop BB6_2006 Depth=1
                                        ; =>  This Inner Loop Header: Depth=2
	s_add_u32 s20, s4, s16
	s_addc_u32 s21, s5, s17
	global_load_ubyte v2, v27, s[20:21]
	s_add_u32 s16, s16, 1
	s_addc_u32 s17, s17, 0
	s_waitcnt vmcnt(0)
	v_and_b32_e32 v26, 0xffff, v2
	v_lshlrev_b64 v[2:3], s14, v[26:27]
	s_add_u32 s14, s14, 8
	s_addc_u32 s15, s15, 0
	v_or_b32_e32 v16, v2, v16
	s_cmp_lg_u32 s19, s16
	v_or_b32_e32 v17, v3, v17
	s_cbranch_scc1 .LBB6_2034
; %bb.2035:                             ;   in Loop: Header=BB6_2006 Depth=1
	s_mov_b32 s18, 0
	s_cbranch_execnz .LBB6_2037
.LBB6_2036:                             ;   in Loop: Header=BB6_2006 Depth=1
	global_load_dwordx2 v[16:17], v27, s[4:5]
	s_add_i32 s18, s19, -8
	s_add_u32 s4, s4, 8
	s_addc_u32 s5, s5, 0
.LBB6_2037:                             ;   in Loop: Header=BB6_2006 Depth=1
	s_cmp_gt_u32 s18, 7
	s_cbranch_scc1 .LBB6_2079
; %bb.2038:                             ;   in Loop: Header=BB6_2006 Depth=1
	s_cmp_eq_u32 s18, 0
	s_cbranch_scc1 .LBB6_2085
; %bb.2039:                             ;   in Loop: Header=BB6_2006 Depth=1
	s_mov_b64 s[14:15], 0
	v_pk_mov_b32 v[18:19], 0, 0
	s_mov_b64 s[16:17], 0
.LBB6_2040:                             ;   Parent Loop BB6_2006 Depth=1
                                        ; =>  This Inner Loop Header: Depth=2
	s_add_u32 s20, s4, s16
	s_addc_u32 s21, s5, s17
	global_load_ubyte v2, v27, s[20:21]
	s_add_u32 s16, s16, 1
	s_addc_u32 s17, s17, 0
	s_waitcnt vmcnt(0)
	v_and_b32_e32 v26, 0xffff, v2
	v_lshlrev_b64 v[2:3], s14, v[26:27]
	s_add_u32 s14, s14, 8
	s_addc_u32 s15, s15, 0
	v_or_b32_e32 v18, v2, v18
	s_cmp_lg_u32 s18, s16
	v_or_b32_e32 v19, v3, v19
	s_cbranch_scc1 .LBB6_2040
; %bb.2041:                             ;   in Loop: Header=BB6_2006 Depth=1
	s_mov_b32 s19, 0
	s_cbranch_execnz .LBB6_2043
.LBB6_2042:                             ;   in Loop: Header=BB6_2006 Depth=1
	global_load_dwordx2 v[18:19], v27, s[4:5]
	s_add_i32 s19, s18, -8
	s_add_u32 s4, s4, 8
	s_addc_u32 s5, s5, 0
.LBB6_2043:                             ;   in Loop: Header=BB6_2006 Depth=1
	s_cmp_gt_u32 s19, 7
	s_cbranch_scc1 .LBB6_2080
; %bb.2044:                             ;   in Loop: Header=BB6_2006 Depth=1
	s_cmp_eq_u32 s19, 0
	s_cbranch_scc1 .LBB6_2086
; %bb.2045:                             ;   in Loop: Header=BB6_2006 Depth=1
	s_mov_b64 s[14:15], 0
	v_pk_mov_b32 v[20:21], 0, 0
	s_mov_b64 s[16:17], s[4:5]
.LBB6_2046:                             ;   Parent Loop BB6_2006 Depth=1
                                        ; =>  This Inner Loop Header: Depth=2
	global_load_ubyte v2, v27, s[16:17]
	s_add_i32 s19, s19, -1
	s_waitcnt vmcnt(0)
	v_and_b32_e32 v26, 0xffff, v2
	v_lshlrev_b64 v[2:3], s14, v[26:27]
	s_add_u32 s14, s14, 8
	s_addc_u32 s15, s15, 0
	s_add_u32 s16, s16, 1
	s_addc_u32 s17, s17, 0
	v_or_b32_e32 v20, v2, v20
	s_cmp_lg_u32 s19, 0
	v_or_b32_e32 v21, v3, v21
	s_cbranch_scc1 .LBB6_2046
; %bb.2047:                             ;   in Loop: Header=BB6_2006 Depth=1
	s_cbranch_execnz .LBB6_2049
.LBB6_2048:                             ;   in Loop: Header=BB6_2006 Depth=1
	global_load_dwordx2 v[20:21], v27, s[4:5]
.LBB6_2049:                             ;   in Loop: Header=BB6_2006 Depth=1
	v_readfirstlane_b32 s4, v31
	v_cmp_eq_u32_e64 s[4:5], s4, v31
	v_pk_mov_b32 v[2:3], 0, 0
	s_and_saveexec_b64 s[14:15], s[4:5]
	s_cbranch_execz .LBB6_2055
; %bb.2050:                             ;   in Loop: Header=BB6_2006 Depth=1
	global_load_dwordx2 v[24:25], v27, s[6:7] offset:24 glc
	s_waitcnt vmcnt(0)
	buffer_invl2
	buffer_wbinvl1_vol
	global_load_dwordx2 v[2:3], v27, s[6:7] offset:40
	global_load_dwordx2 v[22:23], v27, s[6:7]
	s_waitcnt vmcnt(1)
	v_and_b32_e32 v2, v2, v24
	v_and_b32_e32 v3, v3, v25
	v_mul_lo_u32 v3, v3, 24
	v_mul_hi_u32 v26, v2, 24
	v_mul_lo_u32 v2, v2, 24
	v_add_u32_e32 v3, v26, v3
	s_waitcnt vmcnt(0)
	v_add_co_u32_e32 v2, vcc, v22, v2
	v_addc_co_u32_e32 v3, vcc, v23, v3, vcc
	global_load_dwordx2 v[22:23], v[2:3], off glc
	s_waitcnt vmcnt(0)
	global_atomic_cmpswap_x2 v[2:3], v27, v[22:25], s[6:7] offset:24 glc
	s_waitcnt vmcnt(0)
	buffer_invl2
	buffer_wbinvl1_vol
	v_cmp_ne_u64_e32 vcc, v[2:3], v[24:25]
	s_and_saveexec_b64 s[16:17], vcc
	s_cbranch_execz .LBB6_2054
; %bb.2051:                             ;   in Loop: Header=BB6_2006 Depth=1
	s_mov_b64 s[18:19], 0
.LBB6_2052:                             ;   Parent Loop BB6_2006 Depth=1
                                        ; =>  This Inner Loop Header: Depth=2
	s_sleep 1
	global_load_dwordx2 v[22:23], v27, s[6:7] offset:40
	global_load_dwordx2 v[28:29], v27, s[6:7]
	v_pk_mov_b32 v[24:25], v[2:3], v[2:3] op_sel:[0,1]
	s_waitcnt vmcnt(1)
	v_and_b32_e32 v2, v22, v24
	s_waitcnt vmcnt(0)
	v_mad_u64_u32 v[2:3], s[20:21], v2, 24, v[28:29]
	v_and_b32_e32 v23, v23, v25
	v_mov_b32_e32 v22, v3
	v_mad_u64_u32 v[22:23], s[20:21], v23, 24, v[22:23]
	v_mov_b32_e32 v3, v22
	global_load_dwordx2 v[22:23], v[2:3], off glc
	s_waitcnt vmcnt(0)
	global_atomic_cmpswap_x2 v[2:3], v27, v[22:25], s[6:7] offset:24 glc
	s_waitcnt vmcnt(0)
	buffer_invl2
	buffer_wbinvl1_vol
	v_cmp_eq_u64_e32 vcc, v[2:3], v[24:25]
	s_or_b64 s[18:19], vcc, s[18:19]
	s_andn2_b64 exec, exec, s[18:19]
	s_cbranch_execnz .LBB6_2052
; %bb.2053:                             ;   in Loop: Header=BB6_2006 Depth=1
	s_or_b64 exec, exec, s[18:19]
.LBB6_2054:                             ;   in Loop: Header=BB6_2006 Depth=1
	s_or_b64 exec, exec, s[16:17]
.LBB6_2055:                             ;   in Loop: Header=BB6_2006 Depth=1
	s_or_b64 exec, exec, s[14:15]
	global_load_dwordx2 v[28:29], v27, s[6:7] offset:40
	global_load_dwordx4 v[22:25], v27, s[6:7]
	v_readfirstlane_b32 s14, v2
	v_readfirstlane_b32 s15, v3
	s_mov_b64 s[16:17], exec
	s_waitcnt vmcnt(1)
	v_readfirstlane_b32 s18, v28
	v_readfirstlane_b32 s19, v29
	s_and_b64 s[18:19], s[14:15], s[18:19]
	s_mul_i32 s20, s19, 24
	s_mul_hi_u32 s21, s18, 24
	s_mul_i32 s22, s18, 24
	s_add_i32 s20, s21, s20
	v_mov_b32_e32 v2, s20
	s_waitcnt vmcnt(0)
	v_add_co_u32_e32 v28, vcc, s22, v22
	v_addc_co_u32_e32 v29, vcc, v23, v2, vcc
	s_and_saveexec_b64 s[20:21], s[4:5]
	s_cbranch_execz .LBB6_2057
; %bb.2056:                             ;   in Loop: Header=BB6_2006 Depth=1
	v_pk_mov_b32 v[2:3], s[16:17], s[16:17] op_sel:[0,1]
	global_store_dwordx4 v[28:29], v[2:5], off offset:8
.LBB6_2057:                             ;   in Loop: Header=BB6_2006 Depth=1
	s_or_b64 exec, exec, s[20:21]
	s_lshl_b64 s[16:17], s[18:19], 12
	v_mov_b32_e32 v3, s17
	v_add_co_u32_e32 v2, vcc, s16, v24
	v_addc_co_u32_e32 v3, vcc, v25, v3, vcc
	v_or_b32_e32 v24, 2, v6
	v_cmp_gt_u64_e64 vcc, s[10:11], 56
	s_lshl_b32 s16, s12, 2
	v_cndmask_b32_e32 v6, v24, v6, vcc
	s_add_i32 s16, s16, 28
	s_and_b32 s16, s16, 0x1e0
	v_and_b32_e32 v6, 0xffffff1f, v6
	v_or_b32_e32 v6, s16, v6
	v_readfirstlane_b32 s16, v2
	v_readfirstlane_b32 s17, v3
	s_nop 4
	global_store_dwordx4 v30, v[6:9], s[16:17]
	global_store_dwordx4 v30, v[10:13], s[16:17] offset:16
	global_store_dwordx4 v30, v[14:17], s[16:17] offset:32
	;; [unrolled: 1-line block ×3, first 2 shown]
	s_and_saveexec_b64 s[16:17], s[4:5]
	s_cbranch_execz .LBB6_2065
; %bb.2058:                             ;   in Loop: Header=BB6_2006 Depth=1
	global_load_dwordx2 v[14:15], v27, s[6:7] offset:32 glc
	global_load_dwordx2 v[6:7], v27, s[6:7] offset:40
	v_mov_b32_e32 v12, s14
	v_mov_b32_e32 v13, s15
	s_waitcnt vmcnt(0)
	v_readfirstlane_b32 s18, v6
	v_readfirstlane_b32 s19, v7
	s_and_b64 s[18:19], s[18:19], s[14:15]
	s_mul_i32 s19, s19, 24
	s_mul_hi_u32 s20, s18, 24
	s_mul_i32 s18, s18, 24
	s_add_i32 s19, s20, s19
	v_mov_b32_e32 v6, s19
	v_add_co_u32_e32 v10, vcc, s18, v22
	v_addc_co_u32_e32 v11, vcc, v23, v6, vcc
	global_store_dwordx2 v[10:11], v[14:15], off
	buffer_wbl2
	s_waitcnt vmcnt(0)
	global_atomic_cmpswap_x2 v[8:9], v27, v[12:15], s[6:7] offset:32 glc
	s_waitcnt vmcnt(0)
	v_cmp_ne_u64_e32 vcc, v[8:9], v[14:15]
	s_and_saveexec_b64 s[18:19], vcc
	s_cbranch_execz .LBB6_2061
; %bb.2059:                             ;   in Loop: Header=BB6_2006 Depth=1
	s_mov_b64 s[20:21], 0
.LBB6_2060:                             ;   Parent Loop BB6_2006 Depth=1
                                        ; =>  This Inner Loop Header: Depth=2
	s_sleep 1
	global_store_dwordx2 v[10:11], v[8:9], off
	v_mov_b32_e32 v6, s14
	v_mov_b32_e32 v7, s15
	buffer_wbl2
	s_waitcnt vmcnt(0)
	global_atomic_cmpswap_x2 v[6:7], v27, v[6:9], s[6:7] offset:32 glc
	s_waitcnt vmcnt(0)
	v_cmp_eq_u64_e32 vcc, v[6:7], v[8:9]
	s_or_b64 s[20:21], vcc, s[20:21]
	v_pk_mov_b32 v[8:9], v[6:7], v[6:7] op_sel:[0,1]
	s_andn2_b64 exec, exec, s[20:21]
	s_cbranch_execnz .LBB6_2060
.LBB6_2061:                             ;   in Loop: Header=BB6_2006 Depth=1
	s_or_b64 exec, exec, s[18:19]
	global_load_dwordx2 v[6:7], v27, s[6:7] offset:16
	s_mov_b64 s[20:21], exec
	v_mbcnt_lo_u32_b32 v8, s20, 0
	v_mbcnt_hi_u32_b32 v8, s21, v8
	v_cmp_eq_u32_e32 vcc, 0, v8
	s_and_saveexec_b64 s[18:19], vcc
	s_cbranch_execz .LBB6_2063
; %bb.2062:                             ;   in Loop: Header=BB6_2006 Depth=1
	s_bcnt1_i32_b64 s20, s[20:21]
	v_mov_b32_e32 v26, s20
	buffer_wbl2
	s_waitcnt vmcnt(0)
	global_atomic_add_x2 v[6:7], v[26:27], off offset:8
.LBB6_2063:                             ;   in Loop: Header=BB6_2006 Depth=1
	s_or_b64 exec, exec, s[18:19]
	s_waitcnt vmcnt(0)
	global_load_dwordx2 v[8:9], v[6:7], off offset:16
	s_waitcnt vmcnt(0)
	v_cmp_eq_u64_e32 vcc, 0, v[8:9]
	s_cbranch_vccnz .LBB6_2065
; %bb.2064:                             ;   in Loop: Header=BB6_2006 Depth=1
	global_load_dword v26, v[6:7], off offset:24
	s_waitcnt vmcnt(0)
	v_and_b32_e32 v6, 0xffffff, v26
	v_readfirstlane_b32 m0, v6
	buffer_wbl2
	global_store_dwordx2 v[8:9], v[26:27], off
	s_sendmsg sendmsg(MSG_INTERRUPT)
.LBB6_2065:                             ;   in Loop: Header=BB6_2006 Depth=1
	s_or_b64 exec, exec, s[16:17]
	v_add_co_u32_e32 v2, vcc, v2, v30
	v_addc_co_u32_e32 v3, vcc, 0, v3, vcc
	s_branch .LBB6_2067
.LBB6_2066:                             ;   in Loop: Header=BB6_2006 Depth=1
	s_branch .LBB6_2071
.LBB6_2067:                             ;   Parent Loop BB6_2006 Depth=1
                                        ; =>  This Inner Loop Header: Depth=2
	v_mov_b32_e32 v6, 1
	s_and_saveexec_b64 s[16:17], s[4:5]
	s_cbranch_execz .LBB6_2069
; %bb.2068:                             ;   in Loop: Header=BB6_2067 Depth=2
	global_load_dword v6, v[28:29], off offset:20 glc
	s_waitcnt vmcnt(0)
	buffer_invl2
	buffer_wbinvl1_vol
	v_and_b32_e32 v6, 1, v6
.LBB6_2069:                             ;   in Loop: Header=BB6_2067 Depth=2
	s_or_b64 exec, exec, s[16:17]
	v_readfirstlane_b32 s16, v6
	s_cmp_eq_u32 s16, 0
	s_cbranch_scc1 .LBB6_2066
; %bb.2070:                             ;   in Loop: Header=BB6_2067 Depth=2
	s_sleep 1
	s_cbranch_execnz .LBB6_2067
.LBB6_2071:                             ;   in Loop: Header=BB6_2006 Depth=1
	global_load_dwordx4 v[6:9], v[2:3], off
	s_and_saveexec_b64 s[16:17], s[4:5]
	s_cbranch_execz .LBB6_2005
; %bb.2072:                             ;   in Loop: Header=BB6_2006 Depth=1
	global_load_dwordx2 v[2:3], v27, s[6:7] offset:40
	global_load_dwordx2 v[12:13], v27, s[6:7] offset:24 glc
	global_load_dwordx2 v[14:15], v27, s[6:7]
	s_waitcnt vmcnt(3)
	v_mov_b32_e32 v9, s15
	s_waitcnt vmcnt(2)
	v_add_co_u32_e32 v11, vcc, 1, v2
	v_addc_co_u32_e32 v16, vcc, 0, v3, vcc
	v_add_co_u32_e32 v8, vcc, s14, v11
	v_addc_co_u32_e32 v9, vcc, v16, v9, vcc
	v_cmp_eq_u64_e32 vcc, 0, v[8:9]
	v_cndmask_b32_e32 v9, v9, v16, vcc
	v_cndmask_b32_e32 v8, v8, v11, vcc
	v_and_b32_e32 v3, v9, v3
	v_and_b32_e32 v2, v8, v2
	v_mul_lo_u32 v3, v3, 24
	v_mul_hi_u32 v11, v2, 24
	v_mul_lo_u32 v2, v2, 24
	v_add_u32_e32 v3, v11, v3
	s_waitcnt vmcnt(0)
	v_add_co_u32_e32 v2, vcc, v14, v2
	v_addc_co_u32_e32 v3, vcc, v15, v3, vcc
	v_mov_b32_e32 v10, v12
	global_store_dwordx2 v[2:3], v[12:13], off
	v_mov_b32_e32 v11, v13
	buffer_wbl2
	s_waitcnt vmcnt(0)
	global_atomic_cmpswap_x2 v[10:11], v27, v[8:11], s[6:7] offset:24 glc
	s_waitcnt vmcnt(0)
	v_cmp_ne_u64_e32 vcc, v[10:11], v[12:13]
	s_and_b64 exec, exec, vcc
	s_cbranch_execz .LBB6_2005
; %bb.2073:                             ;   in Loop: Header=BB6_2006 Depth=1
	s_mov_b64 s[4:5], 0
.LBB6_2074:                             ;   Parent Loop BB6_2006 Depth=1
                                        ; =>  This Inner Loop Header: Depth=2
	s_sleep 1
	global_store_dwordx2 v[2:3], v[10:11], off
	buffer_wbl2
	s_waitcnt vmcnt(0)
	global_atomic_cmpswap_x2 v[12:13], v27, v[8:11], s[6:7] offset:24 glc
	s_waitcnt vmcnt(0)
	v_cmp_eq_u64_e32 vcc, v[12:13], v[10:11]
	s_or_b64 s[4:5], vcc, s[4:5]
	v_pk_mov_b32 v[10:11], v[12:13], v[12:13] op_sel:[0,1]
	s_andn2_b64 exec, exec, s[4:5]
	s_cbranch_execnz .LBB6_2074
	s_branch .LBB6_2005
.LBB6_2075:                             ;   in Loop: Header=BB6_2006 Depth=1
                                        ; implicit-def: $vgpr10_vgpr11
                                        ; implicit-def: $sgpr19
	s_branch .LBB6_2018
.LBB6_2076:                             ;   in Loop: Header=BB6_2006 Depth=1
                                        ; implicit-def: $sgpr18
	s_branch .LBB6_2024
.LBB6_2077:                             ;   in Loop: Header=BB6_2006 Depth=1
                                        ; implicit-def: $vgpr14_vgpr15
                                        ; implicit-def: $sgpr19
	s_branch .LBB6_2030
.LBB6_2078:                             ;   in Loop: Header=BB6_2006 Depth=1
                                        ; implicit-def: $sgpr18
	s_branch .LBB6_2036
.LBB6_2079:                             ;   in Loop: Header=BB6_2006 Depth=1
                                        ; implicit-def: $vgpr18_vgpr19
                                        ; implicit-def: $sgpr19
	s_branch .LBB6_2042
.LBB6_2080:                             ;   in Loop: Header=BB6_2006 Depth=1
	s_branch .LBB6_2048
.LBB6_2081:                             ;   in Loop: Header=BB6_2006 Depth=1
	v_pk_mov_b32 v[10:11], 0, 0
	s_mov_b32 s19, 0
	s_cbranch_execnz .LBB6_2019
	s_branch .LBB6_2018
.LBB6_2082:                             ;   in Loop: Header=BB6_2006 Depth=1
	v_pk_mov_b32 v[12:13], 0, 0
	s_mov_b32 s18, 0
	s_cbranch_execnz .LBB6_2025
	s_branch .LBB6_2024
.LBB6_2083:                             ;   in Loop: Header=BB6_2006 Depth=1
	v_pk_mov_b32 v[14:15], 0, 0
	s_mov_b32 s19, 0
	s_cbranch_execnz .LBB6_2031
	s_branch .LBB6_2030
.LBB6_2084:                             ;   in Loop: Header=BB6_2006 Depth=1
	v_pk_mov_b32 v[16:17], 0, 0
	s_mov_b32 s18, 0
	s_cbranch_execnz .LBB6_2037
	s_branch .LBB6_2036
.LBB6_2085:                             ;   in Loop: Header=BB6_2006 Depth=1
	v_pk_mov_b32 v[18:19], 0, 0
	s_mov_b32 s19, 0
	s_cbranch_execnz .LBB6_2043
	s_branch .LBB6_2042
.LBB6_2086:                             ;   in Loop: Header=BB6_2006 Depth=1
	v_pk_mov_b32 v[20:21], 0, 0
	s_cbranch_execnz .LBB6_2049
	s_branch .LBB6_2048
.LBB6_2087:
	s_branch .LBB6_2115
.LBB6_2088:
	s_cbranch_execz .LBB6_2115
; %bb.2089:
	v_readfirstlane_b32 s4, v31
	v_cmp_eq_u32_e64 s[4:5], s4, v31
	s_waitcnt vmcnt(0)
	v_pk_mov_b32 v[8:9], 0, 0
	s_and_saveexec_b64 s[8:9], s[4:5]
	s_cbranch_execz .LBB6_2095
; %bb.2090:
	v_mov_b32_e32 v2, 0
	global_load_dwordx2 v[6:7], v2, s[6:7] offset:24 glc
	s_waitcnt vmcnt(0)
	buffer_invl2
	buffer_wbinvl1_vol
	global_load_dwordx2 v[4:5], v2, s[6:7] offset:40
	global_load_dwordx2 v[8:9], v2, s[6:7]
	s_waitcnt vmcnt(1)
	v_and_b32_e32 v3, v4, v6
	v_and_b32_e32 v4, v5, v7
	v_mul_lo_u32 v4, v4, 24
	v_mul_hi_u32 v5, v3, 24
	v_mul_lo_u32 v3, v3, 24
	v_add_u32_e32 v5, v5, v4
	s_waitcnt vmcnt(0)
	v_add_co_u32_e32 v4, vcc, v8, v3
	v_addc_co_u32_e32 v5, vcc, v9, v5, vcc
	global_load_dwordx2 v[4:5], v[4:5], off glc
	s_waitcnt vmcnt(0)
	global_atomic_cmpswap_x2 v[8:9], v2, v[4:7], s[6:7] offset:24 glc
	s_waitcnt vmcnt(0)
	buffer_invl2
	buffer_wbinvl1_vol
	v_cmp_ne_u64_e32 vcc, v[8:9], v[6:7]
	s_and_saveexec_b64 s[10:11], vcc
	s_cbranch_execz .LBB6_2094
; %bb.2091:
	s_mov_b64 s[12:13], 0
.LBB6_2092:                             ; =>This Inner Loop Header: Depth=1
	s_sleep 1
	global_load_dwordx2 v[4:5], v2, s[6:7] offset:40
	global_load_dwordx2 v[10:11], v2, s[6:7]
	v_pk_mov_b32 v[6:7], v[8:9], v[8:9] op_sel:[0,1]
	s_waitcnt vmcnt(1)
	v_and_b32_e32 v4, v4, v6
	v_and_b32_e32 v3, v5, v7
	s_waitcnt vmcnt(0)
	v_mad_u64_u32 v[4:5], s[14:15], v4, 24, v[10:11]
	v_mov_b32_e32 v8, v5
	v_mad_u64_u32 v[8:9], s[14:15], v3, 24, v[8:9]
	v_mov_b32_e32 v5, v8
	global_load_dwordx2 v[4:5], v[4:5], off glc
	s_waitcnt vmcnt(0)
	global_atomic_cmpswap_x2 v[8:9], v2, v[4:7], s[6:7] offset:24 glc
	s_waitcnt vmcnt(0)
	buffer_invl2
	buffer_wbinvl1_vol
	v_cmp_eq_u64_e32 vcc, v[8:9], v[6:7]
	s_or_b64 s[12:13], vcc, s[12:13]
	s_andn2_b64 exec, exec, s[12:13]
	s_cbranch_execnz .LBB6_2092
; %bb.2093:
	s_or_b64 exec, exec, s[12:13]
.LBB6_2094:
	s_or_b64 exec, exec, s[10:11]
.LBB6_2095:
	s_or_b64 exec, exec, s[8:9]
	v_mov_b32_e32 v2, 0
	global_load_dwordx2 v[10:11], v2, s[6:7] offset:40
	global_load_dwordx4 v[4:7], v2, s[6:7]
	v_readfirstlane_b32 s8, v8
	v_readfirstlane_b32 s9, v9
	s_mov_b64 s[10:11], exec
	s_waitcnt vmcnt(1)
	v_readfirstlane_b32 s12, v10
	v_readfirstlane_b32 s13, v11
	s_and_b64 s[12:13], s[8:9], s[12:13]
	s_mul_i32 s14, s13, 24
	s_mul_hi_u32 s15, s12, 24
	s_mul_i32 s16, s12, 24
	s_add_i32 s14, s15, s14
	v_mov_b32_e32 v3, s14
	s_waitcnt vmcnt(0)
	v_add_co_u32_e32 v8, vcc, s16, v4
	v_addc_co_u32_e32 v9, vcc, v5, v3, vcc
	s_and_saveexec_b64 s[14:15], s[4:5]
	s_cbranch_execz .LBB6_2097
; %bb.2096:
	v_pk_mov_b32 v[10:11], s[10:11], s[10:11] op_sel:[0,1]
	v_mov_b32_e32 v12, 2
	v_mov_b32_e32 v13, 1
	global_store_dwordx4 v[8:9], v[10:13], off offset:8
.LBB6_2097:
	s_or_b64 exec, exec, s[14:15]
	s_lshl_b64 s[10:11], s[12:13], 12
	v_mov_b32_e32 v3, s11
	v_add_co_u32_e32 v6, vcc, s10, v6
	v_addc_co_u32_e32 v7, vcc, v7, v3, vcc
	s_movk_i32 s10, 0xff1d
	s_mov_b32 s12, 0
	v_and_or_b32 v0, v0, s10, 34
	v_mov_b32_e32 v3, v2
	v_readfirstlane_b32 s10, v6
	v_readfirstlane_b32 s11, v7
	s_mov_b32 s13, s12
	s_mov_b32 s14, s12
	;; [unrolled: 1-line block ×3, first 2 shown]
	s_nop 1
	global_store_dwordx4 v30, v[0:3], s[10:11]
	s_nop 0
	v_pk_mov_b32 v[0:1], s[12:13], s[12:13] op_sel:[0,1]
	v_pk_mov_b32 v[2:3], s[14:15], s[14:15] op_sel:[0,1]
	global_store_dwordx4 v30, v[0:3], s[10:11] offset:16
	global_store_dwordx4 v30, v[0:3], s[10:11] offset:32
	;; [unrolled: 1-line block ×3, first 2 shown]
	s_and_saveexec_b64 s[10:11], s[4:5]
	s_cbranch_execz .LBB6_2105
; %bb.2098:
	v_mov_b32_e32 v6, 0
	global_load_dwordx2 v[12:13], v6, s[6:7] offset:32 glc
	global_load_dwordx2 v[0:1], v6, s[6:7] offset:40
	v_mov_b32_e32 v10, s8
	v_mov_b32_e32 v11, s9
	s_waitcnt vmcnt(0)
	v_readfirstlane_b32 s12, v0
	v_readfirstlane_b32 s13, v1
	s_and_b64 s[12:13], s[12:13], s[8:9]
	s_mul_i32 s13, s13, 24
	s_mul_hi_u32 s14, s12, 24
	s_mul_i32 s12, s12, 24
	s_add_i32 s13, s14, s13
	v_mov_b32_e32 v0, s13
	v_add_co_u32_e32 v4, vcc, s12, v4
	v_addc_co_u32_e32 v5, vcc, v5, v0, vcc
	global_store_dwordx2 v[4:5], v[12:13], off
	buffer_wbl2
	s_waitcnt vmcnt(0)
	global_atomic_cmpswap_x2 v[2:3], v6, v[10:13], s[6:7] offset:32 glc
	s_waitcnt vmcnt(0)
	v_cmp_ne_u64_e32 vcc, v[2:3], v[12:13]
	s_and_saveexec_b64 s[12:13], vcc
	s_cbranch_execz .LBB6_2101
; %bb.2099:
	s_mov_b64 s[14:15], 0
.LBB6_2100:                             ; =>This Inner Loop Header: Depth=1
	s_sleep 1
	global_store_dwordx2 v[4:5], v[2:3], off
	v_mov_b32_e32 v0, s8
	v_mov_b32_e32 v1, s9
	buffer_wbl2
	s_waitcnt vmcnt(0)
	global_atomic_cmpswap_x2 v[0:1], v6, v[0:3], s[6:7] offset:32 glc
	s_waitcnt vmcnt(0)
	v_cmp_eq_u64_e32 vcc, v[0:1], v[2:3]
	s_or_b64 s[14:15], vcc, s[14:15]
	v_pk_mov_b32 v[2:3], v[0:1], v[0:1] op_sel:[0,1]
	s_andn2_b64 exec, exec, s[14:15]
	s_cbranch_execnz .LBB6_2100
.LBB6_2101:
	s_or_b64 exec, exec, s[12:13]
	v_mov_b32_e32 v3, 0
	global_load_dwordx2 v[0:1], v3, s[6:7] offset:16
	s_mov_b64 s[12:13], exec
	v_mbcnt_lo_u32_b32 v2, s12, 0
	v_mbcnt_hi_u32_b32 v2, s13, v2
	v_cmp_eq_u32_e32 vcc, 0, v2
	s_and_saveexec_b64 s[14:15], vcc
	s_cbranch_execz .LBB6_2103
; %bb.2102:
	s_bcnt1_i32_b64 s12, s[12:13]
	v_mov_b32_e32 v2, s12
	buffer_wbl2
	s_waitcnt vmcnt(0)
	global_atomic_add_x2 v[0:1], v[2:3], off offset:8
.LBB6_2103:
	s_or_b64 exec, exec, s[14:15]
	s_waitcnt vmcnt(0)
	global_load_dwordx2 v[2:3], v[0:1], off offset:16
	s_waitcnt vmcnt(0)
	v_cmp_eq_u64_e32 vcc, 0, v[2:3]
	s_cbranch_vccnz .LBB6_2105
; %bb.2104:
	global_load_dword v0, v[0:1], off offset:24
	v_mov_b32_e32 v1, 0
	buffer_wbl2
	s_waitcnt vmcnt(0)
	global_store_dwordx2 v[2:3], v[0:1], off
	v_and_b32_e32 v0, 0xffffff, v0
	v_readfirstlane_b32 m0, v0
	s_sendmsg sendmsg(MSG_INTERRUPT)
.LBB6_2105:
	s_or_b64 exec, exec, s[10:11]
	s_branch .LBB6_2107
.LBB6_2106:
	s_branch .LBB6_2111
.LBB6_2107:                             ; =>This Inner Loop Header: Depth=1
	v_mov_b32_e32 v0, 1
	s_and_saveexec_b64 s[10:11], s[4:5]
	s_cbranch_execz .LBB6_2109
; %bb.2108:                             ;   in Loop: Header=BB6_2107 Depth=1
	global_load_dword v0, v[8:9], off offset:20 glc
	s_waitcnt vmcnt(0)
	buffer_invl2
	buffer_wbinvl1_vol
	v_and_b32_e32 v0, 1, v0
.LBB6_2109:                             ;   in Loop: Header=BB6_2107 Depth=1
	s_or_b64 exec, exec, s[10:11]
	v_readfirstlane_b32 s10, v0
	s_cmp_eq_u32 s10, 0
	s_cbranch_scc1 .LBB6_2106
; %bb.2110:                             ;   in Loop: Header=BB6_2107 Depth=1
	s_sleep 1
	s_cbranch_execnz .LBB6_2107
.LBB6_2111:
	s_and_saveexec_b64 s[10:11], s[4:5]
	s_cbranch_execz .LBB6_2114
; %bb.2112:
	v_mov_b32_e32 v6, 0
	global_load_dwordx2 v[4:5], v6, s[6:7] offset:40
	global_load_dwordx2 v[8:9], v6, s[6:7] offset:24 glc
	global_load_dwordx2 v[10:11], v6, s[6:7]
	v_mov_b32_e32 v1, s9
	s_mov_b64 s[4:5], 0
	s_waitcnt vmcnt(2)
	v_add_co_u32_e32 v3, vcc, 1, v4
	v_addc_co_u32_e32 v7, vcc, 0, v5, vcc
	v_add_co_u32_e32 v0, vcc, s8, v3
	v_addc_co_u32_e32 v1, vcc, v7, v1, vcc
	v_cmp_eq_u64_e32 vcc, 0, v[0:1]
	v_cndmask_b32_e32 v1, v1, v7, vcc
	v_cndmask_b32_e32 v0, v0, v3, vcc
	v_and_b32_e32 v3, v1, v5
	v_and_b32_e32 v4, v0, v4
	v_mul_lo_u32 v3, v3, 24
	v_mul_hi_u32 v5, v4, 24
	v_mul_lo_u32 v4, v4, 24
	v_add_u32_e32 v3, v5, v3
	s_waitcnt vmcnt(0)
	v_add_co_u32_e32 v4, vcc, v10, v4
	v_addc_co_u32_e32 v5, vcc, v11, v3, vcc
	v_mov_b32_e32 v2, v8
	global_store_dwordx2 v[4:5], v[8:9], off
	v_mov_b32_e32 v3, v9
	buffer_wbl2
	s_waitcnt vmcnt(0)
	global_atomic_cmpswap_x2 v[2:3], v6, v[0:3], s[6:7] offset:24 glc
	s_waitcnt vmcnt(0)
	v_cmp_ne_u64_e32 vcc, v[2:3], v[8:9]
	s_and_b64 exec, exec, vcc
	s_cbranch_execz .LBB6_2114
.LBB6_2113:                             ; =>This Inner Loop Header: Depth=1
	s_sleep 1
	global_store_dwordx2 v[4:5], v[2:3], off
	buffer_wbl2
	s_waitcnt vmcnt(0)
	global_atomic_cmpswap_x2 v[8:9], v6, v[0:3], s[6:7] offset:24 glc
	s_waitcnt vmcnt(0)
	v_cmp_eq_u64_e32 vcc, v[8:9], v[2:3]
	s_or_b64 s[4:5], vcc, s[4:5]
	v_pk_mov_b32 v[2:3], v[8:9], v[8:9] op_sel:[0,1]
	s_andn2_b64 exec, exec, s[4:5]
	s_cbranch_execnz .LBB6_2113
.LBB6_2114:
	s_or_b64 exec, exec, s[10:11]
.LBB6_2115:
	s_getpc_b64 s[4:5]
	s_add_u32 s4, s4, .str.29@rel32@lo+4
	s_addc_u32 s5, s5, .str.29@rel32@hi+12
	s_getpc_b64 s[6:7]
	s_add_u32 s6, s6, .str.19@rel32@lo+4
	s_addc_u32 s7, s7, .str.19@rel32@hi+12
	s_getpc_b64 s[10:11]
	s_add_u32 s10, s10, __PRETTY_FUNCTION__._ZN7VecsMemIjLi8192EE5fetchEi@rel32@lo+4
	s_addc_u32 s11, s11, __PRETTY_FUNCTION__._ZN7VecsMemIjLi8192EE5fetchEi@rel32@hi+12
	s_mov_b64 s[8:9], s[48:49]
	s_waitcnt vmcnt(0)
	v_mov_b32_e32 v0, s4
	v_mov_b32_e32 v1, s5
	;; [unrolled: 1-line block ×7, first 2 shown]
	s_getpc_b64 s[12:13]
	s_add_u32 s12, s12, __assert_fail@rel32@lo+4
	s_addc_u32 s13, s13, __assert_fail@rel32@hi+12
	s_swappc_b64 s[30:31], s[12:13]
	s_or_b64 s[26:27], s[26:27], exec
                                        ; implicit-def: $vgpr40
.LBB6_2116:
	s_or_b64 exec, exec, s[28:29]
	s_andn2_b64 s[4:5], s[50:51], exec
	s_and_b64 s[6:7], s[26:27], exec
	s_or_b64 s[4:5], s[4:5], s[6:7]
.LBB6_2117:
	s_or_b64 exec, exec, s[34:35]
	s_andn2_b64 s[6:7], s[50:51], exec
	s_and_b64 s[4:5], s[4:5], exec
	s_or_b64 s[50:51], s[6:7], s[4:5]
	s_or_b64 exec, exec, s[52:53]
	s_and_saveexec_b64 s[4:5], s[50:51]
	s_cbranch_execnz .LBB6_3
	s_branch .LBB6_4
.LBB6_2118:
	s_mov_b64 s[4:5], 0
	s_branch .LBB6_2120
.LBB6_2119:
	s_mov_b64 s[4:5], -1
.LBB6_2120:
	s_and_b64 vcc, exec, s[4:5]
	s_cbranch_vccz .LBB6_2147
; %bb.2121:
	v_readfirstlane_b32 s4, v31
	v_cmp_eq_u32_e64 s[4:5], s4, v31
	s_waitcnt vmcnt(0)
	v_pk_mov_b32 v[8:9], 0, 0
	s_and_saveexec_b64 s[8:9], s[4:5]
	s_cbranch_execz .LBB6_2127
; %bb.2122:
	v_mov_b32_e32 v2, 0
	global_load_dwordx2 v[6:7], v2, s[6:7] offset:24 glc
	s_waitcnt vmcnt(0)
	buffer_invl2
	buffer_wbinvl1_vol
	global_load_dwordx2 v[4:5], v2, s[6:7] offset:40
	global_load_dwordx2 v[8:9], v2, s[6:7]
	s_waitcnt vmcnt(1)
	v_and_b32_e32 v3, v4, v6
	v_and_b32_e32 v4, v5, v7
	v_mul_lo_u32 v4, v4, 24
	v_mul_hi_u32 v5, v3, 24
	v_mul_lo_u32 v3, v3, 24
	v_add_u32_e32 v5, v5, v4
	s_waitcnt vmcnt(0)
	v_add_co_u32_e32 v4, vcc, v8, v3
	v_addc_co_u32_e32 v5, vcc, v9, v5, vcc
	global_load_dwordx2 v[4:5], v[4:5], off glc
	s_waitcnt vmcnt(0)
	global_atomic_cmpswap_x2 v[8:9], v2, v[4:7], s[6:7] offset:24 glc
	s_waitcnt vmcnt(0)
	buffer_invl2
	buffer_wbinvl1_vol
	v_cmp_ne_u64_e32 vcc, v[8:9], v[6:7]
	s_and_saveexec_b64 s[10:11], vcc
	s_cbranch_execz .LBB6_2126
; %bb.2123:
	s_mov_b64 s[12:13], 0
.LBB6_2124:                             ; =>This Inner Loop Header: Depth=1
	s_sleep 1
	global_load_dwordx2 v[4:5], v2, s[6:7] offset:40
	global_load_dwordx2 v[10:11], v2, s[6:7]
	v_pk_mov_b32 v[6:7], v[8:9], v[8:9] op_sel:[0,1]
	s_waitcnt vmcnt(1)
	v_and_b32_e32 v4, v4, v6
	v_and_b32_e32 v3, v5, v7
	s_waitcnt vmcnt(0)
	v_mad_u64_u32 v[4:5], s[14:15], v4, 24, v[10:11]
	v_mov_b32_e32 v8, v5
	v_mad_u64_u32 v[8:9], s[14:15], v3, 24, v[8:9]
	v_mov_b32_e32 v5, v8
	global_load_dwordx2 v[4:5], v[4:5], off glc
	s_waitcnt vmcnt(0)
	global_atomic_cmpswap_x2 v[8:9], v2, v[4:7], s[6:7] offset:24 glc
	s_waitcnt vmcnt(0)
	buffer_invl2
	buffer_wbinvl1_vol
	v_cmp_eq_u64_e32 vcc, v[8:9], v[6:7]
	s_or_b64 s[12:13], vcc, s[12:13]
	s_andn2_b64 exec, exec, s[12:13]
	s_cbranch_execnz .LBB6_2124
; %bb.2125:
	s_or_b64 exec, exec, s[12:13]
.LBB6_2126:
	s_or_b64 exec, exec, s[10:11]
.LBB6_2127:
	s_or_b64 exec, exec, s[8:9]
	v_mov_b32_e32 v2, 0
	global_load_dwordx2 v[10:11], v2, s[6:7] offset:40
	global_load_dwordx4 v[4:7], v2, s[6:7]
	v_readfirstlane_b32 s8, v8
	v_readfirstlane_b32 s9, v9
	s_mov_b64 s[10:11], exec
	s_waitcnt vmcnt(1)
	v_readfirstlane_b32 s12, v10
	v_readfirstlane_b32 s13, v11
	s_and_b64 s[12:13], s[8:9], s[12:13]
	s_mul_i32 s14, s13, 24
	s_mul_hi_u32 s15, s12, 24
	s_mul_i32 s16, s12, 24
	s_add_i32 s14, s15, s14
	v_mov_b32_e32 v3, s14
	s_waitcnt vmcnt(0)
	v_add_co_u32_e32 v8, vcc, s16, v4
	v_addc_co_u32_e32 v9, vcc, v5, v3, vcc
	s_and_saveexec_b64 s[14:15], s[4:5]
	s_cbranch_execz .LBB6_2129
; %bb.2128:
	v_pk_mov_b32 v[10:11], s[10:11], s[10:11] op_sel:[0,1]
	v_mov_b32_e32 v12, 2
	v_mov_b32_e32 v13, 1
	global_store_dwordx4 v[8:9], v[10:13], off offset:8
.LBB6_2129:
	s_or_b64 exec, exec, s[14:15]
	s_lshl_b64 s[10:11], s[12:13], 12
	v_mov_b32_e32 v3, s11
	v_add_co_u32_e32 v6, vcc, s10, v6
	v_addc_co_u32_e32 v7, vcc, v7, v3, vcc
	s_movk_i32 s10, 0xff1d
	s_mov_b32 s12, 0
	v_and_or_b32 v0, v0, s10, 34
	v_mov_b32_e32 v3, v2
	v_readfirstlane_b32 s10, v6
	v_readfirstlane_b32 s11, v7
	s_mov_b32 s13, s12
	s_mov_b32 s14, s12
	;; [unrolled: 1-line block ×3, first 2 shown]
	s_nop 1
	global_store_dwordx4 v30, v[0:3], s[10:11]
	s_nop 0
	v_pk_mov_b32 v[0:1], s[12:13], s[12:13] op_sel:[0,1]
	v_pk_mov_b32 v[2:3], s[14:15], s[14:15] op_sel:[0,1]
	global_store_dwordx4 v30, v[0:3], s[10:11] offset:16
	global_store_dwordx4 v30, v[0:3], s[10:11] offset:32
	;; [unrolled: 1-line block ×3, first 2 shown]
	s_and_saveexec_b64 s[10:11], s[4:5]
	s_cbranch_execz .LBB6_2137
; %bb.2130:
	v_mov_b32_e32 v6, 0
	global_load_dwordx2 v[12:13], v6, s[6:7] offset:32 glc
	global_load_dwordx2 v[0:1], v6, s[6:7] offset:40
	v_mov_b32_e32 v10, s8
	v_mov_b32_e32 v11, s9
	s_waitcnt vmcnt(0)
	v_readfirstlane_b32 s12, v0
	v_readfirstlane_b32 s13, v1
	s_and_b64 s[12:13], s[12:13], s[8:9]
	s_mul_i32 s13, s13, 24
	s_mul_hi_u32 s14, s12, 24
	s_mul_i32 s12, s12, 24
	s_add_i32 s13, s14, s13
	v_mov_b32_e32 v0, s13
	v_add_co_u32_e32 v4, vcc, s12, v4
	v_addc_co_u32_e32 v5, vcc, v5, v0, vcc
	global_store_dwordx2 v[4:5], v[12:13], off
	buffer_wbl2
	s_waitcnt vmcnt(0)
	global_atomic_cmpswap_x2 v[2:3], v6, v[10:13], s[6:7] offset:32 glc
	s_waitcnt vmcnt(0)
	v_cmp_ne_u64_e32 vcc, v[2:3], v[12:13]
	s_and_saveexec_b64 s[12:13], vcc
	s_cbranch_execz .LBB6_2133
; %bb.2131:
	s_mov_b64 s[14:15], 0
.LBB6_2132:                             ; =>This Inner Loop Header: Depth=1
	s_sleep 1
	global_store_dwordx2 v[4:5], v[2:3], off
	v_mov_b32_e32 v0, s8
	v_mov_b32_e32 v1, s9
	buffer_wbl2
	s_waitcnt vmcnt(0)
	global_atomic_cmpswap_x2 v[0:1], v6, v[0:3], s[6:7] offset:32 glc
	s_waitcnt vmcnt(0)
	v_cmp_eq_u64_e32 vcc, v[0:1], v[2:3]
	s_or_b64 s[14:15], vcc, s[14:15]
	v_pk_mov_b32 v[2:3], v[0:1], v[0:1] op_sel:[0,1]
	s_andn2_b64 exec, exec, s[14:15]
	s_cbranch_execnz .LBB6_2132
.LBB6_2133:
	s_or_b64 exec, exec, s[12:13]
	v_mov_b32_e32 v3, 0
	global_load_dwordx2 v[0:1], v3, s[6:7] offset:16
	s_mov_b64 s[12:13], exec
	v_mbcnt_lo_u32_b32 v2, s12, 0
	v_mbcnt_hi_u32_b32 v2, s13, v2
	v_cmp_eq_u32_e32 vcc, 0, v2
	s_and_saveexec_b64 s[14:15], vcc
	s_cbranch_execz .LBB6_2135
; %bb.2134:
	s_bcnt1_i32_b64 s12, s[12:13]
	v_mov_b32_e32 v2, s12
	buffer_wbl2
	s_waitcnt vmcnt(0)
	global_atomic_add_x2 v[0:1], v[2:3], off offset:8
.LBB6_2135:
	s_or_b64 exec, exec, s[14:15]
	s_waitcnt vmcnt(0)
	global_load_dwordx2 v[2:3], v[0:1], off offset:16
	s_waitcnt vmcnt(0)
	v_cmp_eq_u64_e32 vcc, 0, v[2:3]
	s_cbranch_vccnz .LBB6_2137
; %bb.2136:
	global_load_dword v0, v[0:1], off offset:24
	v_mov_b32_e32 v1, 0
	buffer_wbl2
	s_waitcnt vmcnt(0)
	global_store_dwordx2 v[2:3], v[0:1], off
	v_and_b32_e32 v0, 0xffffff, v0
	v_readfirstlane_b32 m0, v0
	s_sendmsg sendmsg(MSG_INTERRUPT)
.LBB6_2137:
	s_or_b64 exec, exec, s[10:11]
	s_branch .LBB6_2139
.LBB6_2138:
	s_branch .LBB6_2143
.LBB6_2139:                             ; =>This Inner Loop Header: Depth=1
	v_mov_b32_e32 v0, 1
	s_and_saveexec_b64 s[10:11], s[4:5]
	s_cbranch_execz .LBB6_2141
; %bb.2140:                             ;   in Loop: Header=BB6_2139 Depth=1
	global_load_dword v0, v[8:9], off offset:20 glc
	s_waitcnt vmcnt(0)
	buffer_invl2
	buffer_wbinvl1_vol
	v_and_b32_e32 v0, 1, v0
.LBB6_2141:                             ;   in Loop: Header=BB6_2139 Depth=1
	s_or_b64 exec, exec, s[10:11]
	v_readfirstlane_b32 s10, v0
	s_cmp_eq_u32 s10, 0
	s_cbranch_scc1 .LBB6_2138
; %bb.2142:                             ;   in Loop: Header=BB6_2139 Depth=1
	s_sleep 1
	s_cbranch_execnz .LBB6_2139
.LBB6_2143:
	s_and_saveexec_b64 s[10:11], s[4:5]
	s_cbranch_execz .LBB6_2146
; %bb.2144:
	v_mov_b32_e32 v6, 0
	global_load_dwordx2 v[4:5], v6, s[6:7] offset:40
	global_load_dwordx2 v[8:9], v6, s[6:7] offset:24 glc
	global_load_dwordx2 v[10:11], v6, s[6:7]
	v_mov_b32_e32 v1, s9
	s_mov_b64 s[4:5], 0
	s_waitcnt vmcnt(2)
	v_add_co_u32_e32 v3, vcc, 1, v4
	v_addc_co_u32_e32 v7, vcc, 0, v5, vcc
	v_add_co_u32_e32 v0, vcc, s8, v3
	v_addc_co_u32_e32 v1, vcc, v7, v1, vcc
	v_cmp_eq_u64_e32 vcc, 0, v[0:1]
	v_cndmask_b32_e32 v1, v1, v7, vcc
	v_cndmask_b32_e32 v0, v0, v3, vcc
	v_and_b32_e32 v3, v1, v5
	v_and_b32_e32 v4, v0, v4
	v_mul_lo_u32 v3, v3, 24
	v_mul_hi_u32 v5, v4, 24
	v_mul_lo_u32 v4, v4, 24
	v_add_u32_e32 v3, v5, v3
	s_waitcnt vmcnt(0)
	v_add_co_u32_e32 v4, vcc, v10, v4
	v_addc_co_u32_e32 v5, vcc, v11, v3, vcc
	v_mov_b32_e32 v2, v8
	global_store_dwordx2 v[4:5], v[8:9], off
	v_mov_b32_e32 v3, v9
	buffer_wbl2
	s_waitcnt vmcnt(0)
	global_atomic_cmpswap_x2 v[2:3], v6, v[0:3], s[6:7] offset:24 glc
	s_waitcnt vmcnt(0)
	v_cmp_ne_u64_e32 vcc, v[2:3], v[8:9]
	s_and_b64 exec, exec, vcc
	s_cbranch_execz .LBB6_2146
.LBB6_2145:                             ; =>This Inner Loop Header: Depth=1
	s_sleep 1
	global_store_dwordx2 v[4:5], v[2:3], off
	buffer_wbl2
	s_waitcnt vmcnt(0)
	global_atomic_cmpswap_x2 v[8:9], v6, v[0:3], s[6:7] offset:24 glc
	s_waitcnt vmcnt(0)
	v_cmp_eq_u64_e32 vcc, v[8:9], v[2:3]
	s_or_b64 s[4:5], vcc, s[4:5]
	v_pk_mov_b32 v[2:3], v[8:9], v[8:9] op_sel:[0,1]
	s_andn2_b64 exec, exec, s[4:5]
	s_cbranch_execnz .LBB6_2145
.LBB6_2146:
	s_or_b64 exec, exec, s[10:11]
.LBB6_2147:
	s_getpc_b64 s[4:5]
	s_add_u32 s4, s4, .str.29@rel32@lo+4
	s_addc_u32 s5, s5, .str.29@rel32@hi+12
	s_getpc_b64 s[6:7]
	s_add_u32 s6, s6, .str.19@rel32@lo+4
	s_addc_u32 s7, s7, .str.19@rel32@hi+12
	s_getpc_b64 s[10:11]
	s_add_u32 s10, s10, __PRETTY_FUNCTION__._ZN7VecsMemIjLi8192EE5fetchEi@rel32@lo+4
	s_addc_u32 s11, s11, __PRETTY_FUNCTION__._ZN7VecsMemIjLi8192EE5fetchEi@rel32@hi+12
	s_mov_b64 s[8:9], s[48:49]
	s_waitcnt vmcnt(0)
	v_mov_b32_e32 v0, s4
	v_mov_b32_e32 v1, s5
	;; [unrolled: 1-line block ×7, first 2 shown]
	s_getpc_b64 s[12:13]
	s_add_u32 s12, s12, __assert_fail@rel32@lo+4
	s_addc_u32 s13, s13, __assert_fail@rel32@hi+12
	s_swappc_b64 s[30:31], s[12:13]
	v_readlane_b32 s4, v62, 42
	v_readlane_b32 s5, v62, 43
	s_or_b64 s[4:5], s[4:5], exec
.LBB6_2148:
	s_or_b64 exec, exec, s[36:37]
	v_readlane_b32 s6, v62, 42
	v_readlane_b32 s7, v62, 43
	s_andn2_b64 s[6:7], s[6:7], exec
	s_and_b64 s[4:5], s[4:5], exec
	s_or_b64 s[72:73], s[6:7], s[4:5]
	s_orn2_b64 s[4:5], s[34:35], exec
.LBB6_2149:
	s_or_b64 exec, exec, s[28:29]
	s_mov_b64 s[6:7], 0
                                        ; implicit-def: $vgpr40
	s_and_saveexec_b64 s[74:75], s[4:5]
	s_cbranch_execz .LBB6_2523
; %bb.2150:
	v_mov_b32_e32 v0, 0
	s_mov_b64 s[4:5], -1
	v_pk_mov_b32 v[46:47], 0, 0
	s_mov_b64 s[76:77], s[72:73]
	buffer_store_dword v43, off, s[0:3], s33 offset:92
	buffer_store_dword v42, off, s[0:3], s33 offset:88
	;; [unrolled: 1-line block ×3, first 2 shown]
	s_and_saveexec_b64 s[28:29], s[26:27]
	s_cbranch_execz .LBB6_2301
; %bb.2151:
	v_accvgpr_read_b32 v0, a32
	v_accvgpr_read_b32 v1, a33
	flat_load_dword v0, v[0:1]
	s_movk_i32 s4, 0x2001
	s_mov_b64 s[26:27], 0
	v_pk_mov_b32 v[46:47], 0, 0
	s_waitcnt vmcnt(0) lgkmcnt(0)
	v_add_u32_e32 v0, v0, v44
	v_cmp_gt_i32_e32 vcc, s4, v0
	s_and_saveexec_b64 s[4:5], vcc
	s_xor_b64 s[4:5], exec, s[4:5]
	s_cbranch_execz .LBB6_2153
; %bb.2152:
	v_accvgpr_read_b32 v2, a32
	v_accvgpr_read_b32 v3, a33
	v_ashrrev_i32_e32 v1, 31, v0
	flat_store_dword v[2:3], v0
	v_lshlrev_b64 v[0:1], 2, v[0:1]
	v_add_co_u32_e32 v2, vcc, v2, v0
	v_mov_b32_e32 v45, 0
	v_addc_co_u32_e32 v3, vcc, v3, v1, vcc
	v_lshlrev_b64 v[0:1], 2, v[44:45]
	v_sub_co_u32_e32 v0, vcc, v2, v0
	v_subb_co_u32_e32 v1, vcc, v3, v1, vcc
	v_add_co_u32_e32 v46, vcc, 4, v0
	s_mov_b64 s[26:27], exec
	v_addc_co_u32_e32 v47, vcc, 0, v1, vcc
.LBB6_2153:
	s_or_saveexec_b64 s[34:35], s[4:5]
	s_mov_b64 s[4:5], s[72:73]
	s_xor_b64 exec, exec, s[34:35]
	s_cbranch_execz .LBB6_2300
; %bb.2154:
	s_load_dwordx2 s[6:7], s[48:49], 0x50
	v_mbcnt_lo_u32_b32 v0, -1, 0
	v_mbcnt_hi_u32_b32 v31, -1, v0
	v_readfirstlane_b32 s4, v31
	v_cmp_eq_u32_e64 s[4:5], s4, v31
	v_pk_mov_b32 v[6:7], 0, 0
	s_and_saveexec_b64 s[8:9], s[4:5]
	s_cbranch_execz .LBB6_2160
; %bb.2155:
	v_mov_b32_e32 v0, 0
	s_waitcnt lgkmcnt(0)
	global_load_dwordx2 v[4:5], v0, s[6:7] offset:24 glc
	s_waitcnt vmcnt(0)
	buffer_invl2
	buffer_wbinvl1_vol
	global_load_dwordx2 v[2:3], v0, s[6:7] offset:40
	global_load_dwordx2 v[6:7], v0, s[6:7]
	s_waitcnt vmcnt(1)
	v_and_b32_e32 v1, v2, v4
	v_and_b32_e32 v2, v3, v5
	v_mul_lo_u32 v2, v2, 24
	v_mul_hi_u32 v3, v1, 24
	v_mul_lo_u32 v1, v1, 24
	v_add_u32_e32 v3, v3, v2
	s_waitcnt vmcnt(0)
	v_add_co_u32_e32 v2, vcc, v6, v1
	v_addc_co_u32_e32 v3, vcc, v7, v3, vcc
	global_load_dwordx2 v[2:3], v[2:3], off glc
	s_waitcnt vmcnt(0)
	global_atomic_cmpswap_x2 v[6:7], v0, v[2:5], s[6:7] offset:24 glc
	s_waitcnt vmcnt(0)
	buffer_invl2
	buffer_wbinvl1_vol
	v_cmp_ne_u64_e32 vcc, v[6:7], v[4:5]
	s_and_saveexec_b64 s[10:11], vcc
	s_cbranch_execz .LBB6_2159
; %bb.2156:
	s_mov_b64 s[12:13], 0
.LBB6_2157:                             ; =>This Inner Loop Header: Depth=1
	s_sleep 1
	global_load_dwordx2 v[2:3], v0, s[6:7] offset:40
	global_load_dwordx2 v[8:9], v0, s[6:7]
	v_pk_mov_b32 v[4:5], v[6:7], v[6:7] op_sel:[0,1]
	s_waitcnt vmcnt(1)
	v_and_b32_e32 v2, v2, v4
	v_and_b32_e32 v1, v3, v5
	s_waitcnt vmcnt(0)
	v_mad_u64_u32 v[2:3], s[14:15], v2, 24, v[8:9]
	v_mov_b32_e32 v6, v3
	v_mad_u64_u32 v[6:7], s[14:15], v1, 24, v[6:7]
	v_mov_b32_e32 v3, v6
	global_load_dwordx2 v[2:3], v[2:3], off glc
	s_waitcnt vmcnt(0)
	global_atomic_cmpswap_x2 v[6:7], v0, v[2:5], s[6:7] offset:24 glc
	s_waitcnt vmcnt(0)
	buffer_invl2
	buffer_wbinvl1_vol
	v_cmp_eq_u64_e32 vcc, v[6:7], v[4:5]
	s_or_b64 s[12:13], vcc, s[12:13]
	s_andn2_b64 exec, exec, s[12:13]
	s_cbranch_execnz .LBB6_2157
; %bb.2158:
	s_or_b64 exec, exec, s[12:13]
.LBB6_2159:
	s_or_b64 exec, exec, s[10:11]
.LBB6_2160:
	s_or_b64 exec, exec, s[8:9]
	v_mov_b32_e32 v5, 0
	s_waitcnt lgkmcnt(0)
	global_load_dwordx2 v[8:9], v5, s[6:7] offset:40
	global_load_dwordx4 v[0:3], v5, s[6:7]
	v_readfirstlane_b32 s8, v6
	v_readfirstlane_b32 s9, v7
	s_mov_b64 s[10:11], exec
	s_waitcnt vmcnt(0)
	v_readfirstlane_b32 s12, v8
	v_readfirstlane_b32 s13, v9
	s_and_b64 s[12:13], s[8:9], s[12:13]
	s_mul_i32 s14, s13, 24
	s_mul_hi_u32 s15, s12, 24
	s_mul_i32 s16, s12, 24
	s_add_i32 s14, s15, s14
	v_mov_b32_e32 v4, s14
	v_add_co_u32_e32 v8, vcc, s16, v0
	v_addc_co_u32_e32 v9, vcc, v1, v4, vcc
	s_and_saveexec_b64 s[14:15], s[4:5]
	s_cbranch_execz .LBB6_2162
; %bb.2161:
	v_pk_mov_b32 v[10:11], s[10:11], s[10:11] op_sel:[0,1]
	v_mov_b32_e32 v12, 2
	v_mov_b32_e32 v13, 1
	global_store_dwordx4 v[8:9], v[10:13], off offset:8
.LBB6_2162:
	s_or_b64 exec, exec, s[14:15]
	s_lshl_b64 s[10:11], s[12:13], 12
	v_mov_b32_e32 v4, s11
	v_add_co_u32_e32 v2, vcc, s10, v2
	v_addc_co_u32_e32 v3, vcc, v3, v4, vcc
	s_mov_b32 s12, 0
	v_lshlrev_b32_e32 v30, 6, v31
	v_add_co_u32_e32 v10, vcc, v2, v30
	v_mov_b32_e32 v4, 33
	v_mov_b32_e32 v6, v5
	v_mov_b32_e32 v7, v5
	v_readfirstlane_b32 s10, v2
	v_readfirstlane_b32 s11, v3
	s_mov_b32 s13, s12
	v_addc_co_u32_e32 v11, vcc, 0, v3, vcc
	s_mov_b32 s14, s12
	s_mov_b32 s15, s12
	s_nop 0
	global_store_dwordx4 v30, v[4:7], s[10:11]
	v_pk_mov_b32 v[2:3], s[12:13], s[12:13] op_sel:[0,1]
	v_pk_mov_b32 v[4:5], s[14:15], s[14:15] op_sel:[0,1]
	global_store_dwordx4 v30, v[2:5], s[10:11] offset:16
	global_store_dwordx4 v30, v[2:5], s[10:11] offset:32
	global_store_dwordx4 v30, v[2:5], s[10:11] offset:48
	s_and_saveexec_b64 s[10:11], s[4:5]
	s_cbranch_execz .LBB6_2170
; %bb.2163:
	v_mov_b32_e32 v6, 0
	global_load_dwordx2 v[14:15], v6, s[6:7] offset:32 glc
	global_load_dwordx2 v[2:3], v6, s[6:7] offset:40
	v_mov_b32_e32 v12, s8
	v_mov_b32_e32 v13, s9
	s_waitcnt vmcnt(0)
	v_and_b32_e32 v2, s8, v2
	v_and_b32_e32 v3, s9, v3
	v_mul_lo_u32 v3, v3, 24
	v_mul_hi_u32 v4, v2, 24
	v_mul_lo_u32 v2, v2, 24
	v_add_u32_e32 v3, v4, v3
	v_add_co_u32_e32 v4, vcc, v0, v2
	v_addc_co_u32_e32 v5, vcc, v1, v3, vcc
	global_store_dwordx2 v[4:5], v[14:15], off
	buffer_wbl2
	s_waitcnt vmcnt(0)
	global_atomic_cmpswap_x2 v[2:3], v6, v[12:15], s[6:7] offset:32 glc
	s_waitcnt vmcnt(0)
	v_cmp_ne_u64_e32 vcc, v[2:3], v[14:15]
	s_and_saveexec_b64 s[12:13], vcc
	s_cbranch_execz .LBB6_2166
; %bb.2164:
	s_mov_b64 s[14:15], 0
.LBB6_2165:                             ; =>This Inner Loop Header: Depth=1
	s_sleep 1
	global_store_dwordx2 v[4:5], v[2:3], off
	v_mov_b32_e32 v0, s8
	v_mov_b32_e32 v1, s9
	buffer_wbl2
	s_waitcnt vmcnt(0)
	global_atomic_cmpswap_x2 v[0:1], v6, v[0:3], s[6:7] offset:32 glc
	s_waitcnt vmcnt(0)
	v_cmp_eq_u64_e32 vcc, v[0:1], v[2:3]
	s_or_b64 s[14:15], vcc, s[14:15]
	v_pk_mov_b32 v[2:3], v[0:1], v[0:1] op_sel:[0,1]
	s_andn2_b64 exec, exec, s[14:15]
	s_cbranch_execnz .LBB6_2165
.LBB6_2166:
	s_or_b64 exec, exec, s[12:13]
	v_mov_b32_e32 v3, 0
	global_load_dwordx2 v[0:1], v3, s[6:7] offset:16
	s_mov_b64 s[12:13], exec
	v_mbcnt_lo_u32_b32 v2, s12, 0
	v_mbcnt_hi_u32_b32 v2, s13, v2
	v_cmp_eq_u32_e32 vcc, 0, v2
	s_and_saveexec_b64 s[14:15], vcc
	s_cbranch_execz .LBB6_2168
; %bb.2167:
	s_bcnt1_i32_b64 s12, s[12:13]
	v_mov_b32_e32 v2, s12
	buffer_wbl2
	s_waitcnt vmcnt(0)
	global_atomic_add_x2 v[0:1], v[2:3], off offset:8
.LBB6_2168:
	s_or_b64 exec, exec, s[14:15]
	s_waitcnt vmcnt(0)
	global_load_dwordx2 v[2:3], v[0:1], off offset:16
	s_waitcnt vmcnt(0)
	v_cmp_eq_u64_e32 vcc, 0, v[2:3]
	s_cbranch_vccnz .LBB6_2170
; %bb.2169:
	global_load_dword v0, v[0:1], off offset:24
	v_mov_b32_e32 v1, 0
	buffer_wbl2
	s_waitcnt vmcnt(0)
	global_store_dwordx2 v[2:3], v[0:1], off
	v_and_b32_e32 v0, 0xffffff, v0
	v_readfirstlane_b32 m0, v0
	s_sendmsg sendmsg(MSG_INTERRUPT)
.LBB6_2170:
	s_or_b64 exec, exec, s[10:11]
	s_branch .LBB6_2172
.LBB6_2171:
	s_branch .LBB6_2176
.LBB6_2172:                             ; =>This Inner Loop Header: Depth=1
	v_mov_b32_e32 v0, 1
	s_and_saveexec_b64 s[10:11], s[4:5]
	s_cbranch_execz .LBB6_2174
; %bb.2173:                             ;   in Loop: Header=BB6_2172 Depth=1
	global_load_dword v0, v[8:9], off offset:20 glc
	s_waitcnt vmcnt(0)
	buffer_invl2
	buffer_wbinvl1_vol
	v_and_b32_e32 v0, 1, v0
.LBB6_2174:                             ;   in Loop: Header=BB6_2172 Depth=1
	s_or_b64 exec, exec, s[10:11]
	v_readfirstlane_b32 s10, v0
	s_cmp_eq_u32 s10, 0
	s_cbranch_scc1 .LBB6_2171
; %bb.2175:                             ;   in Loop: Header=BB6_2172 Depth=1
	s_sleep 1
	s_cbranch_execnz .LBB6_2172
.LBB6_2176:
	global_load_dwordx2 v[0:1], v[10:11], off
	s_and_saveexec_b64 s[10:11], s[4:5]
	s_cbranch_execz .LBB6_2179
; %bb.2177:
	v_mov_b32_e32 v8, 0
	global_load_dwordx2 v[6:7], v8, s[6:7] offset:40
	global_load_dwordx2 v[10:11], v8, s[6:7] offset:24 glc
	global_load_dwordx2 v[12:13], v8, s[6:7]
	v_mov_b32_e32 v3, s9
	s_mov_b64 s[4:5], 0
	s_waitcnt vmcnt(2)
	v_add_co_u32_e32 v5, vcc, 1, v6
	v_addc_co_u32_e32 v9, vcc, 0, v7, vcc
	v_add_co_u32_e32 v2, vcc, s8, v5
	v_addc_co_u32_e32 v3, vcc, v9, v3, vcc
	v_cmp_eq_u64_e32 vcc, 0, v[2:3]
	v_cndmask_b32_e32 v3, v3, v9, vcc
	v_cndmask_b32_e32 v2, v2, v5, vcc
	v_and_b32_e32 v5, v3, v7
	v_and_b32_e32 v6, v2, v6
	v_mul_lo_u32 v5, v5, 24
	v_mul_hi_u32 v7, v6, 24
	v_mul_lo_u32 v6, v6, 24
	v_add_u32_e32 v5, v7, v5
	s_waitcnt vmcnt(0)
	v_add_co_u32_e32 v6, vcc, v12, v6
	v_addc_co_u32_e32 v7, vcc, v13, v5, vcc
	v_mov_b32_e32 v4, v10
	global_store_dwordx2 v[6:7], v[10:11], off
	v_mov_b32_e32 v5, v11
	buffer_wbl2
	s_waitcnt vmcnt(0)
	global_atomic_cmpswap_x2 v[4:5], v8, v[2:5], s[6:7] offset:24 glc
	s_waitcnt vmcnt(0)
	v_cmp_ne_u64_e32 vcc, v[4:5], v[10:11]
	s_and_b64 exec, exec, vcc
	s_cbranch_execz .LBB6_2179
.LBB6_2178:                             ; =>This Inner Loop Header: Depth=1
	s_sleep 1
	global_store_dwordx2 v[6:7], v[4:5], off
	buffer_wbl2
	s_waitcnt vmcnt(0)
	global_atomic_cmpswap_x2 v[10:11], v8, v[2:5], s[6:7] offset:24 glc
	s_waitcnt vmcnt(0)
	v_cmp_eq_u64_e32 vcc, v[10:11], v[4:5]
	s_or_b64 s[4:5], vcc, s[4:5]
	v_pk_mov_b32 v[4:5], v[10:11], v[10:11] op_sel:[0,1]
	s_andn2_b64 exec, exec, s[4:5]
	s_cbranch_execnz .LBB6_2178
.LBB6_2179:
	s_or_b64 exec, exec, s[10:11]
	s_getpc_b64 s[8:9]
	s_add_u32 s8, s8, .str.28@rel32@lo+4
	s_addc_u32 s9, s9, .str.28@rel32@hi+12
	s_cmp_lg_u64 s[8:9], 0
	s_cbranch_scc0 .LBB6_2271
; %bb.2180:
	s_waitcnt vmcnt(0)
	v_and_b32_e32 v6, -3, v0
	v_mov_b32_e32 v7, v1
	s_mov_b64 s[10:11], 35
	v_mov_b32_e32 v27, 0
	v_mov_b32_e32 v4, 2
	;; [unrolled: 1-line block ×3, first 2 shown]
	s_branch .LBB6_2182
.LBB6_2181:                             ;   in Loop: Header=BB6_2182 Depth=1
	s_or_b64 exec, exec, s[16:17]
	s_sub_u32 s10, s10, s12
	s_subb_u32 s11, s11, s13
	s_add_u32 s8, s8, s12
	s_addc_u32 s9, s9, s13
	s_cmp_lg_u64 s[10:11], 0
	s_cbranch_scc0 .LBB6_2270
.LBB6_2182:                             ; =>This Loop Header: Depth=1
                                        ;     Child Loop BB6_2185 Depth 2
                                        ;     Child Loop BB6_2193 Depth 2
	;; [unrolled: 1-line block ×11, first 2 shown]
	v_cmp_lt_u64_e64 s[4:5], s[10:11], 56
	s_and_b64 s[4:5], s[4:5], exec
	v_cmp_gt_u64_e64 s[4:5], s[10:11], 7
	s_cselect_b32 s13, s11, 0
	s_cselect_b32 s12, s10, 56
	s_and_b64 vcc, exec, s[4:5]
	s_cbranch_vccnz .LBB6_2187
; %bb.2183:                             ;   in Loop: Header=BB6_2182 Depth=1
	s_mov_b64 s[4:5], 0
	s_cmp_eq_u64 s[10:11], 0
	s_waitcnt vmcnt(0)
	v_pk_mov_b32 v[8:9], 0, 0
	s_cbranch_scc1 .LBB6_2186
; %bb.2184:                             ;   in Loop: Header=BB6_2182 Depth=1
	s_lshl_b64 s[14:15], s[12:13], 3
	s_mov_b64 s[16:17], 0
	v_pk_mov_b32 v[8:9], 0, 0
	s_mov_b64 s[18:19], s[8:9]
.LBB6_2185:                             ;   Parent Loop BB6_2182 Depth=1
                                        ; =>  This Inner Loop Header: Depth=2
	global_load_ubyte v2, v27, s[18:19]
	s_waitcnt vmcnt(0)
	v_and_b32_e32 v26, 0xffff, v2
	v_lshlrev_b64 v[2:3], s16, v[26:27]
	s_add_u32 s16, s16, 8
	s_addc_u32 s17, s17, 0
	s_add_u32 s18, s18, 1
	s_addc_u32 s19, s19, 0
	v_or_b32_e32 v8, v2, v8
	s_cmp_lg_u32 s14, s16
	v_or_b32_e32 v9, v3, v9
	s_cbranch_scc1 .LBB6_2185
.LBB6_2186:                             ;   in Loop: Header=BB6_2182 Depth=1
	s_mov_b32 s18, 0
	s_branch .LBB6_2188
.LBB6_2187:                             ;   in Loop: Header=BB6_2182 Depth=1
	s_mov_b64 s[4:5], -1
                                        ; implicit-def: $sgpr18
.LBB6_2188:                             ;   in Loop: Header=BB6_2182 Depth=1
	s_andn2_b64 vcc, exec, s[4:5]
	s_mov_b64 s[4:5], s[8:9]
	s_cbranch_vccnz .LBB6_2190
; %bb.2189:                             ;   in Loop: Header=BB6_2182 Depth=1
	global_load_dwordx2 v[8:9], v27, s[8:9]
	s_add_i32 s18, s12, -8
	s_add_u32 s4, s8, 8
	s_addc_u32 s5, s9, 0
.LBB6_2190:                             ;   in Loop: Header=BB6_2182 Depth=1
	s_cmp_gt_u32 s18, 7
	s_cbranch_scc1 .LBB6_2194
; %bb.2191:                             ;   in Loop: Header=BB6_2182 Depth=1
	s_cmp_eq_u32 s18, 0
	s_cbranch_scc1 .LBB6_2195
; %bb.2192:                             ;   in Loop: Header=BB6_2182 Depth=1
	s_mov_b64 s[14:15], 0
	v_pk_mov_b32 v[10:11], 0, 0
	s_mov_b64 s[16:17], 0
.LBB6_2193:                             ;   Parent Loop BB6_2182 Depth=1
                                        ; =>  This Inner Loop Header: Depth=2
	s_add_u32 s20, s4, s16
	s_addc_u32 s21, s5, s17
	global_load_ubyte v2, v27, s[20:21]
	s_add_u32 s16, s16, 1
	s_addc_u32 s17, s17, 0
	s_waitcnt vmcnt(0)
	v_and_b32_e32 v26, 0xffff, v2
	v_lshlrev_b64 v[2:3], s14, v[26:27]
	s_add_u32 s14, s14, 8
	s_addc_u32 s15, s15, 0
	v_or_b32_e32 v10, v2, v10
	s_cmp_lg_u32 s18, s16
	v_or_b32_e32 v11, v3, v11
	s_cbranch_scc1 .LBB6_2193
	s_branch .LBB6_2196
.LBB6_2194:                             ;   in Loop: Header=BB6_2182 Depth=1
	s_mov_b64 s[14:15], -1
                                        ; implicit-def: $vgpr10_vgpr11
                                        ; implicit-def: $sgpr19
	s_branch .LBB6_2197
.LBB6_2195:                             ;   in Loop: Header=BB6_2182 Depth=1
	v_pk_mov_b32 v[10:11], 0, 0
.LBB6_2196:                             ;   in Loop: Header=BB6_2182 Depth=1
	s_mov_b64 s[14:15], 0
	s_mov_b32 s19, 0
.LBB6_2197:                             ;   in Loop: Header=BB6_2182 Depth=1
	s_andn2_b64 vcc, exec, s[14:15]
	s_cbranch_vccnz .LBB6_2199
; %bb.2198:                             ;   in Loop: Header=BB6_2182 Depth=1
	global_load_dwordx2 v[10:11], v27, s[4:5]
	s_add_i32 s19, s18, -8
	s_add_u32 s4, s4, 8
	s_addc_u32 s5, s5, 0
.LBB6_2199:                             ;   in Loop: Header=BB6_2182 Depth=1
	s_cmp_gt_u32 s19, 7
	s_cbranch_scc1 .LBB6_2203
; %bb.2200:                             ;   in Loop: Header=BB6_2182 Depth=1
	s_cmp_eq_u32 s19, 0
	s_cbranch_scc1 .LBB6_2204
; %bb.2201:                             ;   in Loop: Header=BB6_2182 Depth=1
	s_mov_b64 s[14:15], 0
	v_pk_mov_b32 v[12:13], 0, 0
	s_mov_b64 s[16:17], 0
.LBB6_2202:                             ;   Parent Loop BB6_2182 Depth=1
                                        ; =>  This Inner Loop Header: Depth=2
	s_add_u32 s20, s4, s16
	s_addc_u32 s21, s5, s17
	global_load_ubyte v2, v27, s[20:21]
	s_add_u32 s16, s16, 1
	s_addc_u32 s17, s17, 0
	s_waitcnt vmcnt(0)
	v_and_b32_e32 v26, 0xffff, v2
	v_lshlrev_b64 v[2:3], s14, v[26:27]
	s_add_u32 s14, s14, 8
	s_addc_u32 s15, s15, 0
	v_or_b32_e32 v12, v2, v12
	s_cmp_lg_u32 s19, s16
	v_or_b32_e32 v13, v3, v13
	s_cbranch_scc1 .LBB6_2202
	s_branch .LBB6_2205
.LBB6_2203:                             ;   in Loop: Header=BB6_2182 Depth=1
	s_mov_b64 s[14:15], -1
                                        ; implicit-def: $sgpr18
	s_branch .LBB6_2206
.LBB6_2204:                             ;   in Loop: Header=BB6_2182 Depth=1
	v_pk_mov_b32 v[12:13], 0, 0
.LBB6_2205:                             ;   in Loop: Header=BB6_2182 Depth=1
	s_mov_b64 s[14:15], 0
	s_mov_b32 s18, 0
.LBB6_2206:                             ;   in Loop: Header=BB6_2182 Depth=1
	s_andn2_b64 vcc, exec, s[14:15]
	s_cbranch_vccnz .LBB6_2208
; %bb.2207:                             ;   in Loop: Header=BB6_2182 Depth=1
	global_load_dwordx2 v[12:13], v27, s[4:5]
	s_add_i32 s18, s19, -8
	s_add_u32 s4, s4, 8
	s_addc_u32 s5, s5, 0
.LBB6_2208:                             ;   in Loop: Header=BB6_2182 Depth=1
	s_cmp_gt_u32 s18, 7
	s_cbranch_scc1 .LBB6_2212
; %bb.2209:                             ;   in Loop: Header=BB6_2182 Depth=1
	s_cmp_eq_u32 s18, 0
	s_cbranch_scc1 .LBB6_2213
; %bb.2210:                             ;   in Loop: Header=BB6_2182 Depth=1
	s_mov_b64 s[14:15], 0
	v_pk_mov_b32 v[14:15], 0, 0
	s_mov_b64 s[16:17], 0
.LBB6_2211:                             ;   Parent Loop BB6_2182 Depth=1
                                        ; =>  This Inner Loop Header: Depth=2
	s_add_u32 s20, s4, s16
	s_addc_u32 s21, s5, s17
	global_load_ubyte v2, v27, s[20:21]
	s_add_u32 s16, s16, 1
	s_addc_u32 s17, s17, 0
	s_waitcnt vmcnt(0)
	v_and_b32_e32 v26, 0xffff, v2
	v_lshlrev_b64 v[2:3], s14, v[26:27]
	s_add_u32 s14, s14, 8
	s_addc_u32 s15, s15, 0
	v_or_b32_e32 v14, v2, v14
	s_cmp_lg_u32 s18, s16
	v_or_b32_e32 v15, v3, v15
	s_cbranch_scc1 .LBB6_2211
	s_branch .LBB6_2214
.LBB6_2212:                             ;   in Loop: Header=BB6_2182 Depth=1
	s_mov_b64 s[14:15], -1
                                        ; implicit-def: $vgpr14_vgpr15
                                        ; implicit-def: $sgpr19
	s_branch .LBB6_2215
.LBB6_2213:                             ;   in Loop: Header=BB6_2182 Depth=1
	v_pk_mov_b32 v[14:15], 0, 0
.LBB6_2214:                             ;   in Loop: Header=BB6_2182 Depth=1
	s_mov_b64 s[14:15], 0
	s_mov_b32 s19, 0
.LBB6_2215:                             ;   in Loop: Header=BB6_2182 Depth=1
	s_andn2_b64 vcc, exec, s[14:15]
	s_cbranch_vccnz .LBB6_2217
; %bb.2216:                             ;   in Loop: Header=BB6_2182 Depth=1
	global_load_dwordx2 v[14:15], v27, s[4:5]
	s_add_i32 s19, s18, -8
	s_add_u32 s4, s4, 8
	s_addc_u32 s5, s5, 0
.LBB6_2217:                             ;   in Loop: Header=BB6_2182 Depth=1
	s_cmp_gt_u32 s19, 7
	s_cbranch_scc1 .LBB6_2221
; %bb.2218:                             ;   in Loop: Header=BB6_2182 Depth=1
	s_cmp_eq_u32 s19, 0
	s_cbranch_scc1 .LBB6_2222
; %bb.2219:                             ;   in Loop: Header=BB6_2182 Depth=1
	s_mov_b64 s[14:15], 0
	v_pk_mov_b32 v[16:17], 0, 0
	s_mov_b64 s[16:17], 0
.LBB6_2220:                             ;   Parent Loop BB6_2182 Depth=1
                                        ; =>  This Inner Loop Header: Depth=2
	s_add_u32 s20, s4, s16
	s_addc_u32 s21, s5, s17
	global_load_ubyte v2, v27, s[20:21]
	s_add_u32 s16, s16, 1
	s_addc_u32 s17, s17, 0
	s_waitcnt vmcnt(0)
	v_and_b32_e32 v26, 0xffff, v2
	v_lshlrev_b64 v[2:3], s14, v[26:27]
	s_add_u32 s14, s14, 8
	s_addc_u32 s15, s15, 0
	v_or_b32_e32 v16, v2, v16
	s_cmp_lg_u32 s19, s16
	v_or_b32_e32 v17, v3, v17
	s_cbranch_scc1 .LBB6_2220
	s_branch .LBB6_2223
.LBB6_2221:                             ;   in Loop: Header=BB6_2182 Depth=1
	s_mov_b64 s[14:15], -1
                                        ; implicit-def: $sgpr18
	s_branch .LBB6_2224
.LBB6_2222:                             ;   in Loop: Header=BB6_2182 Depth=1
	v_pk_mov_b32 v[16:17], 0, 0
.LBB6_2223:                             ;   in Loop: Header=BB6_2182 Depth=1
	s_mov_b64 s[14:15], 0
	s_mov_b32 s18, 0
.LBB6_2224:                             ;   in Loop: Header=BB6_2182 Depth=1
	s_andn2_b64 vcc, exec, s[14:15]
	s_cbranch_vccnz .LBB6_2226
; %bb.2225:                             ;   in Loop: Header=BB6_2182 Depth=1
	global_load_dwordx2 v[16:17], v27, s[4:5]
	s_add_i32 s18, s19, -8
	s_add_u32 s4, s4, 8
	s_addc_u32 s5, s5, 0
.LBB6_2226:                             ;   in Loop: Header=BB6_2182 Depth=1
	s_cmp_gt_u32 s18, 7
	s_cbranch_scc1 .LBB6_2230
; %bb.2227:                             ;   in Loop: Header=BB6_2182 Depth=1
	s_cmp_eq_u32 s18, 0
	s_cbranch_scc1 .LBB6_2231
; %bb.2228:                             ;   in Loop: Header=BB6_2182 Depth=1
	s_mov_b64 s[14:15], 0
	v_pk_mov_b32 v[18:19], 0, 0
	s_mov_b64 s[16:17], 0
.LBB6_2229:                             ;   Parent Loop BB6_2182 Depth=1
                                        ; =>  This Inner Loop Header: Depth=2
	s_add_u32 s20, s4, s16
	s_addc_u32 s21, s5, s17
	global_load_ubyte v2, v27, s[20:21]
	s_add_u32 s16, s16, 1
	s_addc_u32 s17, s17, 0
	s_waitcnt vmcnt(0)
	v_and_b32_e32 v26, 0xffff, v2
	v_lshlrev_b64 v[2:3], s14, v[26:27]
	s_add_u32 s14, s14, 8
	s_addc_u32 s15, s15, 0
	v_or_b32_e32 v18, v2, v18
	s_cmp_lg_u32 s18, s16
	v_or_b32_e32 v19, v3, v19
	s_cbranch_scc1 .LBB6_2229
	s_branch .LBB6_2232
.LBB6_2230:                             ;   in Loop: Header=BB6_2182 Depth=1
	s_mov_b64 s[14:15], -1
                                        ; implicit-def: $vgpr18_vgpr19
                                        ; implicit-def: $sgpr19
	s_branch .LBB6_2233
.LBB6_2231:                             ;   in Loop: Header=BB6_2182 Depth=1
	v_pk_mov_b32 v[18:19], 0, 0
.LBB6_2232:                             ;   in Loop: Header=BB6_2182 Depth=1
	s_mov_b64 s[14:15], 0
	s_mov_b32 s19, 0
.LBB6_2233:                             ;   in Loop: Header=BB6_2182 Depth=1
	s_andn2_b64 vcc, exec, s[14:15]
	s_cbranch_vccnz .LBB6_2235
; %bb.2234:                             ;   in Loop: Header=BB6_2182 Depth=1
	global_load_dwordx2 v[18:19], v27, s[4:5]
	s_add_i32 s19, s18, -8
	s_add_u32 s4, s4, 8
	s_addc_u32 s5, s5, 0
.LBB6_2235:                             ;   in Loop: Header=BB6_2182 Depth=1
	s_cmp_gt_u32 s19, 7
	s_cbranch_scc1 .LBB6_2239
; %bb.2236:                             ;   in Loop: Header=BB6_2182 Depth=1
	s_cmp_eq_u32 s19, 0
	s_cbranch_scc1 .LBB6_2240
; %bb.2237:                             ;   in Loop: Header=BB6_2182 Depth=1
	s_mov_b64 s[14:15], 0
	v_pk_mov_b32 v[20:21], 0, 0
	s_mov_b64 s[16:17], s[4:5]
.LBB6_2238:                             ;   Parent Loop BB6_2182 Depth=1
                                        ; =>  This Inner Loop Header: Depth=2
	global_load_ubyte v2, v27, s[16:17]
	s_add_i32 s19, s19, -1
	s_waitcnt vmcnt(0)
	v_and_b32_e32 v26, 0xffff, v2
	v_lshlrev_b64 v[2:3], s14, v[26:27]
	s_add_u32 s14, s14, 8
	s_addc_u32 s15, s15, 0
	s_add_u32 s16, s16, 1
	s_addc_u32 s17, s17, 0
	v_or_b32_e32 v20, v2, v20
	s_cmp_lg_u32 s19, 0
	v_or_b32_e32 v21, v3, v21
	s_cbranch_scc1 .LBB6_2238
	s_branch .LBB6_2241
.LBB6_2239:                             ;   in Loop: Header=BB6_2182 Depth=1
	s_mov_b64 s[14:15], -1
	s_branch .LBB6_2242
.LBB6_2240:                             ;   in Loop: Header=BB6_2182 Depth=1
	v_pk_mov_b32 v[20:21], 0, 0
.LBB6_2241:                             ;   in Loop: Header=BB6_2182 Depth=1
	s_mov_b64 s[14:15], 0
.LBB6_2242:                             ;   in Loop: Header=BB6_2182 Depth=1
	s_andn2_b64 vcc, exec, s[14:15]
	s_cbranch_vccnz .LBB6_2244
; %bb.2243:                             ;   in Loop: Header=BB6_2182 Depth=1
	global_load_dwordx2 v[20:21], v27, s[4:5]
.LBB6_2244:                             ;   in Loop: Header=BB6_2182 Depth=1
	v_readfirstlane_b32 s4, v31
	v_cmp_eq_u32_e64 s[4:5], s4, v31
	v_pk_mov_b32 v[2:3], 0, 0
	s_and_saveexec_b64 s[14:15], s[4:5]
	s_cbranch_execz .LBB6_2250
; %bb.2245:                             ;   in Loop: Header=BB6_2182 Depth=1
	global_load_dwordx2 v[24:25], v27, s[6:7] offset:24 glc
	s_waitcnt vmcnt(0)
	buffer_invl2
	buffer_wbinvl1_vol
	global_load_dwordx2 v[2:3], v27, s[6:7] offset:40
	global_load_dwordx2 v[22:23], v27, s[6:7]
	s_waitcnt vmcnt(1)
	v_and_b32_e32 v2, v2, v24
	v_and_b32_e32 v3, v3, v25
	v_mul_lo_u32 v3, v3, 24
	v_mul_hi_u32 v26, v2, 24
	v_mul_lo_u32 v2, v2, 24
	v_add_u32_e32 v3, v26, v3
	s_waitcnt vmcnt(0)
	v_add_co_u32_e32 v2, vcc, v22, v2
	v_addc_co_u32_e32 v3, vcc, v23, v3, vcc
	global_load_dwordx2 v[22:23], v[2:3], off glc
	s_waitcnt vmcnt(0)
	global_atomic_cmpswap_x2 v[2:3], v27, v[22:25], s[6:7] offset:24 glc
	s_waitcnt vmcnt(0)
	buffer_invl2
	buffer_wbinvl1_vol
	v_cmp_ne_u64_e32 vcc, v[2:3], v[24:25]
	s_and_saveexec_b64 s[16:17], vcc
	s_cbranch_execz .LBB6_2249
; %bb.2246:                             ;   in Loop: Header=BB6_2182 Depth=1
	s_mov_b64 s[18:19], 0
.LBB6_2247:                             ;   Parent Loop BB6_2182 Depth=1
                                        ; =>  This Inner Loop Header: Depth=2
	s_sleep 1
	global_load_dwordx2 v[22:23], v27, s[6:7] offset:40
	global_load_dwordx2 v[28:29], v27, s[6:7]
	v_pk_mov_b32 v[24:25], v[2:3], v[2:3] op_sel:[0,1]
	s_waitcnt vmcnt(1)
	v_and_b32_e32 v2, v22, v24
	s_waitcnt vmcnt(0)
	v_mad_u64_u32 v[2:3], s[20:21], v2, 24, v[28:29]
	v_and_b32_e32 v23, v23, v25
	v_mov_b32_e32 v22, v3
	v_mad_u64_u32 v[22:23], s[20:21], v23, 24, v[22:23]
	v_mov_b32_e32 v3, v22
	global_load_dwordx2 v[22:23], v[2:3], off glc
	s_waitcnt vmcnt(0)
	global_atomic_cmpswap_x2 v[2:3], v27, v[22:25], s[6:7] offset:24 glc
	s_waitcnt vmcnt(0)
	buffer_invl2
	buffer_wbinvl1_vol
	v_cmp_eq_u64_e32 vcc, v[2:3], v[24:25]
	s_or_b64 s[18:19], vcc, s[18:19]
	s_andn2_b64 exec, exec, s[18:19]
	s_cbranch_execnz .LBB6_2247
; %bb.2248:                             ;   in Loop: Header=BB6_2182 Depth=1
	s_or_b64 exec, exec, s[18:19]
.LBB6_2249:                             ;   in Loop: Header=BB6_2182 Depth=1
	s_or_b64 exec, exec, s[16:17]
.LBB6_2250:                             ;   in Loop: Header=BB6_2182 Depth=1
	s_or_b64 exec, exec, s[14:15]
	global_load_dwordx2 v[28:29], v27, s[6:7] offset:40
	global_load_dwordx4 v[22:25], v27, s[6:7]
	v_readfirstlane_b32 s14, v2
	v_readfirstlane_b32 s15, v3
	s_mov_b64 s[16:17], exec
	s_waitcnt vmcnt(1)
	v_readfirstlane_b32 s18, v28
	v_readfirstlane_b32 s19, v29
	s_and_b64 s[18:19], s[14:15], s[18:19]
	s_mul_i32 s20, s19, 24
	s_mul_hi_u32 s21, s18, 24
	s_mul_i32 s22, s18, 24
	s_add_i32 s20, s21, s20
	v_mov_b32_e32 v2, s20
	s_waitcnt vmcnt(0)
	v_add_co_u32_e32 v28, vcc, s22, v22
	v_addc_co_u32_e32 v29, vcc, v23, v2, vcc
	s_and_saveexec_b64 s[20:21], s[4:5]
	s_cbranch_execz .LBB6_2252
; %bb.2251:                             ;   in Loop: Header=BB6_2182 Depth=1
	v_pk_mov_b32 v[2:3], s[16:17], s[16:17] op_sel:[0,1]
	global_store_dwordx4 v[28:29], v[2:5], off offset:8
.LBB6_2252:                             ;   in Loop: Header=BB6_2182 Depth=1
	s_or_b64 exec, exec, s[20:21]
	s_lshl_b64 s[16:17], s[18:19], 12
	v_mov_b32_e32 v3, s17
	v_add_co_u32_e32 v2, vcc, s16, v24
	v_addc_co_u32_e32 v3, vcc, v25, v3, vcc
	v_or_b32_e32 v24, 2, v6
	v_cmp_gt_u64_e64 vcc, s[10:11], 56
	s_lshl_b32 s16, s12, 2
	v_cndmask_b32_e32 v6, v24, v6, vcc
	s_add_i32 s16, s16, 28
	s_and_b32 s16, s16, 0x1e0
	v_and_b32_e32 v6, 0xffffff1f, v6
	v_or_b32_e32 v6, s16, v6
	v_readfirstlane_b32 s16, v2
	v_readfirstlane_b32 s17, v3
	s_nop 4
	global_store_dwordx4 v30, v[6:9], s[16:17]
	global_store_dwordx4 v30, v[10:13], s[16:17] offset:16
	global_store_dwordx4 v30, v[14:17], s[16:17] offset:32
	;; [unrolled: 1-line block ×3, first 2 shown]
	s_and_saveexec_b64 s[16:17], s[4:5]
	s_cbranch_execz .LBB6_2260
; %bb.2253:                             ;   in Loop: Header=BB6_2182 Depth=1
	global_load_dwordx2 v[14:15], v27, s[6:7] offset:32 glc
	global_load_dwordx2 v[6:7], v27, s[6:7] offset:40
	v_mov_b32_e32 v12, s14
	v_mov_b32_e32 v13, s15
	s_waitcnt vmcnt(0)
	v_readfirstlane_b32 s18, v6
	v_readfirstlane_b32 s19, v7
	s_and_b64 s[18:19], s[18:19], s[14:15]
	s_mul_i32 s19, s19, 24
	s_mul_hi_u32 s20, s18, 24
	s_mul_i32 s18, s18, 24
	s_add_i32 s19, s20, s19
	v_mov_b32_e32 v6, s19
	v_add_co_u32_e32 v10, vcc, s18, v22
	v_addc_co_u32_e32 v11, vcc, v23, v6, vcc
	global_store_dwordx2 v[10:11], v[14:15], off
	buffer_wbl2
	s_waitcnt vmcnt(0)
	global_atomic_cmpswap_x2 v[8:9], v27, v[12:15], s[6:7] offset:32 glc
	s_waitcnt vmcnt(0)
	v_cmp_ne_u64_e32 vcc, v[8:9], v[14:15]
	s_and_saveexec_b64 s[18:19], vcc
	s_cbranch_execz .LBB6_2256
; %bb.2254:                             ;   in Loop: Header=BB6_2182 Depth=1
	s_mov_b64 s[20:21], 0
.LBB6_2255:                             ;   Parent Loop BB6_2182 Depth=1
                                        ; =>  This Inner Loop Header: Depth=2
	s_sleep 1
	global_store_dwordx2 v[10:11], v[8:9], off
	v_mov_b32_e32 v6, s14
	v_mov_b32_e32 v7, s15
	buffer_wbl2
	s_waitcnt vmcnt(0)
	global_atomic_cmpswap_x2 v[6:7], v27, v[6:9], s[6:7] offset:32 glc
	s_waitcnt vmcnt(0)
	v_cmp_eq_u64_e32 vcc, v[6:7], v[8:9]
	s_or_b64 s[20:21], vcc, s[20:21]
	v_pk_mov_b32 v[8:9], v[6:7], v[6:7] op_sel:[0,1]
	s_andn2_b64 exec, exec, s[20:21]
	s_cbranch_execnz .LBB6_2255
.LBB6_2256:                             ;   in Loop: Header=BB6_2182 Depth=1
	s_or_b64 exec, exec, s[18:19]
	global_load_dwordx2 v[6:7], v27, s[6:7] offset:16
	s_mov_b64 s[20:21], exec
	v_mbcnt_lo_u32_b32 v8, s20, 0
	v_mbcnt_hi_u32_b32 v8, s21, v8
	v_cmp_eq_u32_e32 vcc, 0, v8
	s_and_saveexec_b64 s[18:19], vcc
	s_cbranch_execz .LBB6_2258
; %bb.2257:                             ;   in Loop: Header=BB6_2182 Depth=1
	s_bcnt1_i32_b64 s20, s[20:21]
	v_mov_b32_e32 v26, s20
	buffer_wbl2
	s_waitcnt vmcnt(0)
	global_atomic_add_x2 v[6:7], v[26:27], off offset:8
.LBB6_2258:                             ;   in Loop: Header=BB6_2182 Depth=1
	s_or_b64 exec, exec, s[18:19]
	s_waitcnt vmcnt(0)
	global_load_dwordx2 v[8:9], v[6:7], off offset:16
	s_waitcnt vmcnt(0)
	v_cmp_eq_u64_e32 vcc, 0, v[8:9]
	s_cbranch_vccnz .LBB6_2260
; %bb.2259:                             ;   in Loop: Header=BB6_2182 Depth=1
	global_load_dword v26, v[6:7], off offset:24
	s_waitcnt vmcnt(0)
	v_and_b32_e32 v6, 0xffffff, v26
	v_readfirstlane_b32 m0, v6
	buffer_wbl2
	global_store_dwordx2 v[8:9], v[26:27], off
	s_sendmsg sendmsg(MSG_INTERRUPT)
.LBB6_2260:                             ;   in Loop: Header=BB6_2182 Depth=1
	s_or_b64 exec, exec, s[16:17]
	v_add_co_u32_e32 v2, vcc, v2, v30
	v_addc_co_u32_e32 v3, vcc, 0, v3, vcc
	s_branch .LBB6_2262
.LBB6_2261:                             ;   in Loop: Header=BB6_2182 Depth=1
	s_branch .LBB6_2266
.LBB6_2262:                             ;   Parent Loop BB6_2182 Depth=1
                                        ; =>  This Inner Loop Header: Depth=2
	v_mov_b32_e32 v6, 1
	s_and_saveexec_b64 s[16:17], s[4:5]
	s_cbranch_execz .LBB6_2264
; %bb.2263:                             ;   in Loop: Header=BB6_2262 Depth=2
	global_load_dword v6, v[28:29], off offset:20 glc
	s_waitcnt vmcnt(0)
	buffer_invl2
	buffer_wbinvl1_vol
	v_and_b32_e32 v6, 1, v6
.LBB6_2264:                             ;   in Loop: Header=BB6_2262 Depth=2
	s_or_b64 exec, exec, s[16:17]
	v_readfirstlane_b32 s16, v6
	s_cmp_eq_u32 s16, 0
	s_cbranch_scc1 .LBB6_2261
; %bb.2265:                             ;   in Loop: Header=BB6_2262 Depth=2
	s_sleep 1
	s_cbranch_execnz .LBB6_2262
.LBB6_2266:                             ;   in Loop: Header=BB6_2182 Depth=1
	global_load_dwordx4 v[6:9], v[2:3], off
	s_and_saveexec_b64 s[16:17], s[4:5]
	s_cbranch_execz .LBB6_2181
; %bb.2267:                             ;   in Loop: Header=BB6_2182 Depth=1
	global_load_dwordx2 v[2:3], v27, s[6:7] offset:40
	global_load_dwordx2 v[12:13], v27, s[6:7] offset:24 glc
	global_load_dwordx2 v[14:15], v27, s[6:7]
	s_waitcnt vmcnt(3)
	v_mov_b32_e32 v9, s15
	s_waitcnt vmcnt(2)
	v_add_co_u32_e32 v11, vcc, 1, v2
	v_addc_co_u32_e32 v16, vcc, 0, v3, vcc
	v_add_co_u32_e32 v8, vcc, s14, v11
	v_addc_co_u32_e32 v9, vcc, v16, v9, vcc
	v_cmp_eq_u64_e32 vcc, 0, v[8:9]
	v_cndmask_b32_e32 v9, v9, v16, vcc
	v_cndmask_b32_e32 v8, v8, v11, vcc
	v_and_b32_e32 v3, v9, v3
	v_and_b32_e32 v2, v8, v2
	v_mul_lo_u32 v3, v3, 24
	v_mul_hi_u32 v11, v2, 24
	v_mul_lo_u32 v2, v2, 24
	v_add_u32_e32 v3, v11, v3
	s_waitcnt vmcnt(0)
	v_add_co_u32_e32 v2, vcc, v14, v2
	v_addc_co_u32_e32 v3, vcc, v15, v3, vcc
	v_mov_b32_e32 v10, v12
	global_store_dwordx2 v[2:3], v[12:13], off
	v_mov_b32_e32 v11, v13
	buffer_wbl2
	s_waitcnt vmcnt(0)
	global_atomic_cmpswap_x2 v[10:11], v27, v[8:11], s[6:7] offset:24 glc
	s_waitcnt vmcnt(0)
	v_cmp_ne_u64_e32 vcc, v[10:11], v[12:13]
	s_and_b64 exec, exec, vcc
	s_cbranch_execz .LBB6_2181
; %bb.2268:                             ;   in Loop: Header=BB6_2182 Depth=1
	s_mov_b64 s[4:5], 0
.LBB6_2269:                             ;   Parent Loop BB6_2182 Depth=1
                                        ; =>  This Inner Loop Header: Depth=2
	s_sleep 1
	global_store_dwordx2 v[2:3], v[10:11], off
	buffer_wbl2
	s_waitcnt vmcnt(0)
	global_atomic_cmpswap_x2 v[12:13], v27, v[8:11], s[6:7] offset:24 glc
	s_waitcnt vmcnt(0)
	v_cmp_eq_u64_e32 vcc, v[12:13], v[10:11]
	s_or_b64 s[4:5], vcc, s[4:5]
	v_pk_mov_b32 v[10:11], v[12:13], v[12:13] op_sel:[0,1]
	s_andn2_b64 exec, exec, s[4:5]
	s_cbranch_execnz .LBB6_2269
	s_branch .LBB6_2181
.LBB6_2270:
	s_mov_b64 s[4:5], 0
	s_branch .LBB6_2272
.LBB6_2271:
	s_mov_b64 s[4:5], -1
.LBB6_2272:
	s_and_b64 vcc, exec, s[4:5]
	s_cbranch_vccz .LBB6_2299
; %bb.2273:
	v_readfirstlane_b32 s4, v31
	v_cmp_eq_u32_e64 s[4:5], s4, v31
	s_waitcnt vmcnt(0)
	v_pk_mov_b32 v[8:9], 0, 0
	s_and_saveexec_b64 s[8:9], s[4:5]
	s_cbranch_execz .LBB6_2279
; %bb.2274:
	v_mov_b32_e32 v2, 0
	global_load_dwordx2 v[6:7], v2, s[6:7] offset:24 glc
	s_waitcnt vmcnt(0)
	buffer_invl2
	buffer_wbinvl1_vol
	global_load_dwordx2 v[4:5], v2, s[6:7] offset:40
	global_load_dwordx2 v[8:9], v2, s[6:7]
	s_waitcnt vmcnt(1)
	v_and_b32_e32 v3, v4, v6
	v_and_b32_e32 v4, v5, v7
	v_mul_lo_u32 v4, v4, 24
	v_mul_hi_u32 v5, v3, 24
	v_mul_lo_u32 v3, v3, 24
	v_add_u32_e32 v5, v5, v4
	s_waitcnt vmcnt(0)
	v_add_co_u32_e32 v4, vcc, v8, v3
	v_addc_co_u32_e32 v5, vcc, v9, v5, vcc
	global_load_dwordx2 v[4:5], v[4:5], off glc
	s_waitcnt vmcnt(0)
	global_atomic_cmpswap_x2 v[8:9], v2, v[4:7], s[6:7] offset:24 glc
	s_waitcnt vmcnt(0)
	buffer_invl2
	buffer_wbinvl1_vol
	v_cmp_ne_u64_e32 vcc, v[8:9], v[6:7]
	s_and_saveexec_b64 s[10:11], vcc
	s_cbranch_execz .LBB6_2278
; %bb.2275:
	s_mov_b64 s[12:13], 0
.LBB6_2276:                             ; =>This Inner Loop Header: Depth=1
	s_sleep 1
	global_load_dwordx2 v[4:5], v2, s[6:7] offset:40
	global_load_dwordx2 v[10:11], v2, s[6:7]
	v_pk_mov_b32 v[6:7], v[8:9], v[8:9] op_sel:[0,1]
	s_waitcnt vmcnt(1)
	v_and_b32_e32 v4, v4, v6
	v_and_b32_e32 v3, v5, v7
	s_waitcnt vmcnt(0)
	v_mad_u64_u32 v[4:5], s[14:15], v4, 24, v[10:11]
	v_mov_b32_e32 v8, v5
	v_mad_u64_u32 v[8:9], s[14:15], v3, 24, v[8:9]
	v_mov_b32_e32 v5, v8
	global_load_dwordx2 v[4:5], v[4:5], off glc
	s_waitcnt vmcnt(0)
	global_atomic_cmpswap_x2 v[8:9], v2, v[4:7], s[6:7] offset:24 glc
	s_waitcnt vmcnt(0)
	buffer_invl2
	buffer_wbinvl1_vol
	v_cmp_eq_u64_e32 vcc, v[8:9], v[6:7]
	s_or_b64 s[12:13], vcc, s[12:13]
	s_andn2_b64 exec, exec, s[12:13]
	s_cbranch_execnz .LBB6_2276
; %bb.2277:
	s_or_b64 exec, exec, s[12:13]
.LBB6_2278:
	s_or_b64 exec, exec, s[10:11]
.LBB6_2279:
	s_or_b64 exec, exec, s[8:9]
	v_mov_b32_e32 v2, 0
	global_load_dwordx2 v[10:11], v2, s[6:7] offset:40
	global_load_dwordx4 v[4:7], v2, s[6:7]
	v_readfirstlane_b32 s8, v8
	v_readfirstlane_b32 s9, v9
	s_mov_b64 s[10:11], exec
	s_waitcnt vmcnt(1)
	v_readfirstlane_b32 s12, v10
	v_readfirstlane_b32 s13, v11
	s_and_b64 s[12:13], s[8:9], s[12:13]
	s_mul_i32 s14, s13, 24
	s_mul_hi_u32 s15, s12, 24
	s_mul_i32 s16, s12, 24
	s_add_i32 s14, s15, s14
	v_mov_b32_e32 v3, s14
	s_waitcnt vmcnt(0)
	v_add_co_u32_e32 v8, vcc, s16, v4
	v_addc_co_u32_e32 v9, vcc, v5, v3, vcc
	s_and_saveexec_b64 s[14:15], s[4:5]
	s_cbranch_execz .LBB6_2281
; %bb.2280:
	v_pk_mov_b32 v[10:11], s[10:11], s[10:11] op_sel:[0,1]
	v_mov_b32_e32 v12, 2
	v_mov_b32_e32 v13, 1
	global_store_dwordx4 v[8:9], v[10:13], off offset:8
.LBB6_2281:
	s_or_b64 exec, exec, s[14:15]
	s_lshl_b64 s[10:11], s[12:13], 12
	v_mov_b32_e32 v3, s11
	v_add_co_u32_e32 v6, vcc, s10, v6
	v_addc_co_u32_e32 v7, vcc, v7, v3, vcc
	s_movk_i32 s10, 0xff1d
	s_mov_b32 s12, 0
	v_and_or_b32 v0, v0, s10, 34
	v_mov_b32_e32 v3, v2
	v_readfirstlane_b32 s10, v6
	v_readfirstlane_b32 s11, v7
	s_mov_b32 s13, s12
	s_mov_b32 s14, s12
	;; [unrolled: 1-line block ×3, first 2 shown]
	s_nop 1
	global_store_dwordx4 v30, v[0:3], s[10:11]
	s_nop 0
	v_pk_mov_b32 v[0:1], s[12:13], s[12:13] op_sel:[0,1]
	v_pk_mov_b32 v[2:3], s[14:15], s[14:15] op_sel:[0,1]
	global_store_dwordx4 v30, v[0:3], s[10:11] offset:16
	global_store_dwordx4 v30, v[0:3], s[10:11] offset:32
	;; [unrolled: 1-line block ×3, first 2 shown]
	s_and_saveexec_b64 s[10:11], s[4:5]
	s_cbranch_execz .LBB6_2289
; %bb.2282:
	v_mov_b32_e32 v6, 0
	global_load_dwordx2 v[12:13], v6, s[6:7] offset:32 glc
	global_load_dwordx2 v[0:1], v6, s[6:7] offset:40
	v_mov_b32_e32 v10, s8
	v_mov_b32_e32 v11, s9
	s_waitcnt vmcnt(0)
	v_readfirstlane_b32 s12, v0
	v_readfirstlane_b32 s13, v1
	s_and_b64 s[12:13], s[12:13], s[8:9]
	s_mul_i32 s13, s13, 24
	s_mul_hi_u32 s14, s12, 24
	s_mul_i32 s12, s12, 24
	s_add_i32 s13, s14, s13
	v_mov_b32_e32 v0, s13
	v_add_co_u32_e32 v4, vcc, s12, v4
	v_addc_co_u32_e32 v5, vcc, v5, v0, vcc
	global_store_dwordx2 v[4:5], v[12:13], off
	buffer_wbl2
	s_waitcnt vmcnt(0)
	global_atomic_cmpswap_x2 v[2:3], v6, v[10:13], s[6:7] offset:32 glc
	s_waitcnt vmcnt(0)
	v_cmp_ne_u64_e32 vcc, v[2:3], v[12:13]
	s_and_saveexec_b64 s[12:13], vcc
	s_cbranch_execz .LBB6_2285
; %bb.2283:
	s_mov_b64 s[14:15], 0
.LBB6_2284:                             ; =>This Inner Loop Header: Depth=1
	s_sleep 1
	global_store_dwordx2 v[4:5], v[2:3], off
	v_mov_b32_e32 v0, s8
	v_mov_b32_e32 v1, s9
	buffer_wbl2
	s_waitcnt vmcnt(0)
	global_atomic_cmpswap_x2 v[0:1], v6, v[0:3], s[6:7] offset:32 glc
	s_waitcnt vmcnt(0)
	v_cmp_eq_u64_e32 vcc, v[0:1], v[2:3]
	s_or_b64 s[14:15], vcc, s[14:15]
	v_pk_mov_b32 v[2:3], v[0:1], v[0:1] op_sel:[0,1]
	s_andn2_b64 exec, exec, s[14:15]
	s_cbranch_execnz .LBB6_2284
.LBB6_2285:
	s_or_b64 exec, exec, s[12:13]
	v_mov_b32_e32 v3, 0
	global_load_dwordx2 v[0:1], v3, s[6:7] offset:16
	s_mov_b64 s[12:13], exec
	v_mbcnt_lo_u32_b32 v2, s12, 0
	v_mbcnt_hi_u32_b32 v2, s13, v2
	v_cmp_eq_u32_e32 vcc, 0, v2
	s_and_saveexec_b64 s[14:15], vcc
	s_cbranch_execz .LBB6_2287
; %bb.2286:
	s_bcnt1_i32_b64 s12, s[12:13]
	v_mov_b32_e32 v2, s12
	buffer_wbl2
	s_waitcnt vmcnt(0)
	global_atomic_add_x2 v[0:1], v[2:3], off offset:8
.LBB6_2287:
	s_or_b64 exec, exec, s[14:15]
	s_waitcnt vmcnt(0)
	global_load_dwordx2 v[2:3], v[0:1], off offset:16
	s_waitcnt vmcnt(0)
	v_cmp_eq_u64_e32 vcc, 0, v[2:3]
	s_cbranch_vccnz .LBB6_2289
; %bb.2288:
	global_load_dword v0, v[0:1], off offset:24
	v_mov_b32_e32 v1, 0
	buffer_wbl2
	s_waitcnt vmcnt(0)
	global_store_dwordx2 v[2:3], v[0:1], off
	v_and_b32_e32 v0, 0xffffff, v0
	v_readfirstlane_b32 m0, v0
	s_sendmsg sendmsg(MSG_INTERRUPT)
.LBB6_2289:
	s_or_b64 exec, exec, s[10:11]
	s_branch .LBB6_2291
.LBB6_2290:
	s_branch .LBB6_2295
.LBB6_2291:                             ; =>This Inner Loop Header: Depth=1
	v_mov_b32_e32 v0, 1
	s_and_saveexec_b64 s[10:11], s[4:5]
	s_cbranch_execz .LBB6_2293
; %bb.2292:                             ;   in Loop: Header=BB6_2291 Depth=1
	global_load_dword v0, v[8:9], off offset:20 glc
	s_waitcnt vmcnt(0)
	buffer_invl2
	buffer_wbinvl1_vol
	v_and_b32_e32 v0, 1, v0
.LBB6_2293:                             ;   in Loop: Header=BB6_2291 Depth=1
	s_or_b64 exec, exec, s[10:11]
	v_readfirstlane_b32 s10, v0
	s_cmp_eq_u32 s10, 0
	s_cbranch_scc1 .LBB6_2290
; %bb.2294:                             ;   in Loop: Header=BB6_2291 Depth=1
	s_sleep 1
	s_cbranch_execnz .LBB6_2291
.LBB6_2295:
	s_and_saveexec_b64 s[10:11], s[4:5]
	s_cbranch_execz .LBB6_2298
; %bb.2296:
	v_mov_b32_e32 v6, 0
	global_load_dwordx2 v[4:5], v6, s[6:7] offset:40
	global_load_dwordx2 v[8:9], v6, s[6:7] offset:24 glc
	global_load_dwordx2 v[10:11], v6, s[6:7]
	v_mov_b32_e32 v1, s9
	s_mov_b64 s[4:5], 0
	s_waitcnt vmcnt(2)
	v_add_co_u32_e32 v3, vcc, 1, v4
	v_addc_co_u32_e32 v7, vcc, 0, v5, vcc
	v_add_co_u32_e32 v0, vcc, s8, v3
	v_addc_co_u32_e32 v1, vcc, v7, v1, vcc
	v_cmp_eq_u64_e32 vcc, 0, v[0:1]
	v_cndmask_b32_e32 v1, v1, v7, vcc
	v_cndmask_b32_e32 v0, v0, v3, vcc
	v_and_b32_e32 v3, v1, v5
	v_and_b32_e32 v4, v0, v4
	v_mul_lo_u32 v3, v3, 24
	v_mul_hi_u32 v5, v4, 24
	v_mul_lo_u32 v4, v4, 24
	v_add_u32_e32 v3, v5, v3
	s_waitcnt vmcnt(0)
	v_add_co_u32_e32 v4, vcc, v10, v4
	v_addc_co_u32_e32 v5, vcc, v11, v3, vcc
	v_mov_b32_e32 v2, v8
	global_store_dwordx2 v[4:5], v[8:9], off
	v_mov_b32_e32 v3, v9
	buffer_wbl2
	s_waitcnt vmcnt(0)
	global_atomic_cmpswap_x2 v[2:3], v6, v[0:3], s[6:7] offset:24 glc
	s_waitcnt vmcnt(0)
	v_cmp_ne_u64_e32 vcc, v[2:3], v[8:9]
	s_and_b64 exec, exec, vcc
	s_cbranch_execz .LBB6_2298
.LBB6_2297:                             ; =>This Inner Loop Header: Depth=1
	s_sleep 1
	global_store_dwordx2 v[4:5], v[2:3], off
	buffer_wbl2
	s_waitcnt vmcnt(0)
	global_atomic_cmpswap_x2 v[8:9], v6, v[0:3], s[6:7] offset:24 glc
	s_waitcnt vmcnt(0)
	v_cmp_eq_u64_e32 vcc, v[8:9], v[2:3]
	s_or_b64 s[4:5], vcc, s[4:5]
	v_pk_mov_b32 v[2:3], v[8:9], v[8:9] op_sel:[0,1]
	s_andn2_b64 exec, exec, s[4:5]
	s_cbranch_execnz .LBB6_2297
.LBB6_2298:
	s_or_b64 exec, exec, s[10:11]
.LBB6_2299:
	s_getpc_b64 s[4:5]
	s_add_u32 s4, s4, .str.29@rel32@lo+4
	s_addc_u32 s5, s5, .str.29@rel32@hi+12
	s_getpc_b64 s[6:7]
	s_add_u32 s6, s6, .str.19@rel32@lo+4
	s_addc_u32 s7, s7, .str.19@rel32@hi+12
	s_getpc_b64 s[10:11]
	s_add_u32 s10, s10, __PRETTY_FUNCTION__._ZN7VecsMemIjLi8192EE5fetchEi@rel32@lo+4
	s_addc_u32 s11, s11, __PRETTY_FUNCTION__._ZN7VecsMemIjLi8192EE5fetchEi@rel32@hi+12
	s_mov_b64 s[8:9], s[48:49]
	s_waitcnt vmcnt(0)
	v_mov_b32_e32 v0, s4
	v_mov_b32_e32 v1, s5
	;; [unrolled: 1-line block ×7, first 2 shown]
	s_getpc_b64 s[12:13]
	s_add_u32 s12, s12, __assert_fail@rel32@lo+4
	s_addc_u32 s13, s13, __assert_fail@rel32@hi+12
	s_swappc_b64 s[30:31], s[12:13]
	s_or_b64 s[4:5], s[72:73], exec
.LBB6_2300:
	s_or_b64 exec, exec, s[34:35]
	s_andn2_b64 s[6:7], s[72:73], exec
	s_and_b64 s[4:5], s[4:5], exec
	s_or_b64 s[76:77], s[6:7], s[4:5]
	s_orn2_b64 s[4:5], s[26:27], exec
.LBB6_2301:
	s_or_b64 exec, exec, s[28:29]
	s_mov_b64 s[6:7], 0
                                        ; implicit-def: $vgpr40
	s_and_saveexec_b64 s[78:79], s[4:5]
	s_cbranch_execz .LBB6_2522
; %bb.2302:
	s_mov_b32 s10, 0
	v_cmp_lt_i32_e32 vcc, 0, v44
	buffer_store_dword v47, off, s[0:3], s33 offset:108
	buffer_store_dword v46, off, s[0:3], s33 offset:104
	s_and_saveexec_b64 s[6:7], vcc
	s_cbranch_execz .LBB6_2305
; %bb.2303:
	v_lshrrev_b32_e64 v1, 6, s33
	v_lshrrev_b32_e64 v2, 6, s33
	v_not_b32_e32 v0, v57
	s_mov_b64 s[8:9], 0
	v_add_u32_e32 v1, 0x60, v1
	v_add_u32_e32 v2, 0x50, v2
.LBB6_2304:                             ; =>This Inner Loop Header: Depth=1
	flat_load_dword v3, v[58:59]
	s_add_i32 s10, s10, 1
	s_waitcnt vmcnt(0) lgkmcnt(0)
	v_and_b32_e32 v4, v3, v57
	v_cmp_eq_u32_e32 vcc, 0, v4
	v_cndmask_b32_e32 v6, v2, v1, vcc
	buffer_load_dword v4, v6, s[0:3], 0 offen offset:4
	v_cndmask_b32_e64 v5, v0, -1, vcc
	v_and_b32_e32 v3, v5, v3
	v_cndmask_b32_e32 v8, v42, v46, vcc
	v_cndmask_b32_e32 v7, v43, v47, vcc
	s_waitcnt vmcnt(0)
	v_ashrrev_i32_e32 v5, 31, v4
	v_add_u32_e32 v9, 1, v4
	v_lshlrev_b64 v[4:5], 2, v[4:5]
	v_add_co_u32_e32 v4, vcc, v8, v4
	v_addc_co_u32_e32 v5, vcc, v7, v5, vcc
	buffer_store_dword v9, v6, s[0:3], 0 offen offset:4
	flat_store_dword v[4:5], v3
	v_accvgpr_read_b32 v5, a1
	v_accvgpr_read_b32 v4, a0
	flat_load_dword v3, v[4:5] offset:4
	v_add_co_u32_e32 v58, vcc, 4, v58
	v_addc_co_u32_e32 v59, vcc, 0, v59, vcc
	s_waitcnt vmcnt(0) lgkmcnt(0)
	v_cmp_ge_i32_e64 s[4:5], s10, v3
	s_or_b64 s[8:9], s[4:5], s[8:9]
	s_andn2_b64 exec, exec, s[8:9]
	s_cbranch_execnz .LBB6_2304
.LBB6_2305:
	s_or_b64 exec, exec, s[6:7]
	flat_load_dword v0, v[54:55]
	v_pk_mov_b32 v[56:57], v[60:61], v[60:61] op_sel:[0,1]
	s_mov_b64 s[8:9], s[48:49]
	v_mov_b32_e32 v1, 0
	v_mov_b32_e32 v2, v41
	;; [unrolled: 1-line block ×4, first 2 shown]
	s_mov_b64 s[66:67], src_private_base
	s_getpc_b64 s[4:5]
	s_add_u32 s4, s4, _ZN3sop23sopFactorTrivialCubeRecEjiiPN8subgUtil4SubgILi256EEE@rel32@lo+4
	s_addc_u32 s5, s5, _ZN3sop23sopFactorTrivialCubeRecEjiiPN8subgUtil4SubgILi256EEE@rel32@hi+12
	s_swappc_b64 s[30:31], s[4:5]
	v_accvgpr_read_b32 v4, a32
	v_mov_b32_e32 v42, v0
	v_lshrrev_b32_e64 v0, 6, s33
	v_accvgpr_read_b32 v5, a33
	s_mov_b64 s[8:9], s[48:49]
	v_add_u32_e32 v0, 0x50, v0
	v_mov_b32_e32 v1, s67
	v_mov_b32_e32 v2, v41
	;; [unrolled: 1-line block ×6, first 2 shown]
	s_getpc_b64 s[4:5]
	s_add_u32 s4, s4, _ZN3sop12sopFactorRecEPNS_3SopEiP7VecsMemIjLi8192EEPN8subgUtil4SubgILi256EEE@rel32@lo+4
	s_addc_u32 s5, s5, _ZN3sop12sopFactorRecEPNS_3SopEiP7VecsMemIjLi8192EEPN8subgUtil4SubgILi256EEE@rel32@hi+12
	s_swappc_b64 s[30:31], s[4:5]
	flat_load_dword v2, v[60:61]
	s_movk_i32 s4, 0xff
	s_mov_b64 s[34:35], s[76:77]
	s_waitcnt vmcnt(0) lgkmcnt(0)
	v_cmp_lt_i32_e32 vcc, s4, v2
	s_and_saveexec_b64 s[4:5], vcc
	s_xor_b64 s[26:27], exec, s[4:5]
	s_cbranch_execz .LBB6_2307
; %bb.2306:
	s_getpc_b64 s[4:5]
	s_add_u32 s4, s4, .str.43@rel32@lo+4
	s_addc_u32 s5, s5, .str.43@rel32@hi+12
	s_getpc_b64 s[6:7]
	s_add_u32 s6, s6, .str.44@rel32@lo+4
	s_addc_u32 s7, s7, .str.44@rel32@hi+12
	s_getpc_b64 s[10:11]
	s_add_u32 s10, s10, __PRETTY_FUNCTION__._ZN8subgUtil4SubgILi256EE10addNodeAndEii@rel32@lo+4
	s_addc_u32 s11, s11, __PRETTY_FUNCTION__._ZN8subgUtil4SubgILi256EE10addNodeAndEii@rel32@hi+12
	s_mov_b64 s[8:9], s[48:49]
	v_mov_b32_e32 v0, s4
	v_mov_b32_e32 v1, s5
	v_mov_b32_e32 v2, s6
	v_mov_b32_e32 v3, s7
	v_mov_b32_e32 v4, 60
	v_mov_b32_e32 v5, s10
	v_mov_b32_e32 v6, s11
	s_getpc_b64 s[12:13]
	s_add_u32 s12, s12, __assert_fail@rel32@lo+4
	s_addc_u32 s13, s13, __assert_fail@rel32@hi+12
	s_swappc_b64 s[30:31], s[12:13]
	s_or_b64 s[34:35], s[76:77], exec
                                        ; implicit-def: $vgpr2
                                        ; implicit-def: $vgpr42
                                        ; implicit-def: $vgpr0
                                        ; implicit-def: $vgpr60_vgpr61
                                        ; implicit-def: $vgpr41
                                        ; implicit-def: $agpr32
.LBB6_2307:
	s_or_saveexec_b64 s[36:37], s[26:27]
	s_mov_b64 s[4:5], 0
                                        ; implicit-def: $vgpr40
	s_xor_b64 exec, exec, s[36:37]
	s_cbranch_execz .LBB6_2521
; %bb.2308:
	v_or_b32_e32 v1, v0, v42
	v_cmp_lt_i32_e32 vcc, -1, v1
	s_mov_b64 s[26:27], 0
	s_mov_b64 s[28:29], s[34:35]
                                        ; implicit-def: $vgpr40
	s_and_saveexec_b64 s[4:5], vcc
	s_xor_b64 s[38:39], exec, s[4:5]
	s_cbranch_execz .LBB6_2518
; %bb.2309:
	buffer_load_dword v4, off, s[0:3], s33 offset:100
	v_ashrrev_i32_e32 v3, 31, v2
	v_add_u32_e32 v5, 1, v2
	v_lshlrev_b32_e32 v40, 1, v2
	v_pk_mov_b32 v[6:7], v[60:61], v[60:61] op_sel:[0,1]
	v_lshlrev_b64 v[2:3], 3, v[2:3]
	v_add_co_u32_e32 v2, vcc, v6, v2
	v_min_i32_e32 v1, v42, v0
	v_max_i32_e32 v0, v42, v0
	v_addc_co_u32_e32 v3, vcc, v7, v3, vcc
	s_mov_b64 s[6:7], -1
	v_lshlrev_b32_e32 v0, 1, v0
	s_mov_b64 s[4:5], s[34:35]
	flat_store_dword v[60:61], v5
	flat_store_dwordx2 v[2:3], v[0:1] offset:8
	s_waitcnt vmcnt(0)
	v_cmp_ne_u32_e32 vcc, 0, v4
	s_and_saveexec_b64 s[40:41], vcc
	s_cbranch_execz .LBB6_2515
; %bb.2310:
	s_mov_b64 s[4:5], src_private_base
	v_lshrrev_b32_e64 v0, 6, s33
	v_pk_mov_b32 v[42:43], v[60:61], v[60:61] op_sel:[0,1]
	s_mov_b64 s[8:9], s[48:49]
	v_add_u32_e32 v0, 0x60, v0
	v_mov_b32_e32 v1, s5
	v_mov_b32_e32 v2, v41
	v_accvgpr_read_b32 v3, a32
	v_accvgpr_read_b32 v4, a33
	v_mov_b32_e32 v5, v42
	v_mov_b32_e32 v6, v43
	s_getpc_b64 s[6:7]
	s_add_u32 s6, s6, _ZN3sop12sopFactorRecEPNS_3SopEiP7VecsMemIjLi8192EEPN8subgUtil4SubgILi256EEE@rel32@lo+4
	s_addc_u32 s7, s7, _ZN3sop12sopFactorRecEPNS_3SopEiP7VecsMemIjLi8192EEPN8subgUtil4SubgILi256EEE@rel32@hi+12
	s_swappc_b64 s[30:31], s[6:7]
	flat_load_dword v1, v[60:61]
	s_movk_i32 s4, 0xff
	s_mov_b64 s[26:27], s[34:35]
	s_waitcnt vmcnt(0) lgkmcnt(0)
	v_cmp_lt_i32_e32 vcc, s4, v1
	s_and_saveexec_b64 s[4:5], vcc
	s_xor_b64 s[28:29], exec, s[4:5]
	s_cbranch_execz .LBB6_2312
; %bb.2311:
	s_getpc_b64 s[4:5]
	s_add_u32 s4, s4, .str.43@rel32@lo+4
	s_addc_u32 s5, s5, .str.43@rel32@hi+12
	s_getpc_b64 s[6:7]
	s_add_u32 s6, s6, .str.44@rel32@lo+4
	s_addc_u32 s7, s7, .str.44@rel32@hi+12
	s_getpc_b64 s[10:11]
	s_add_u32 s10, s10, __PRETTY_FUNCTION__._ZN8subgUtil4SubgILi256EE9addNodeOrEii@rel32@lo+4
	s_addc_u32 s11, s11, __PRETTY_FUNCTION__._ZN8subgUtil4SubgILi256EE9addNodeOrEii@rel32@hi+12
	s_mov_b64 s[8:9], s[48:49]
	v_mov_b32_e32 v0, s4
	v_mov_b32_e32 v1, s5
	;; [unrolled: 1-line block ×7, first 2 shown]
	s_getpc_b64 s[12:13]
	s_add_u32 s12, s12, __assert_fail@rel32@lo+4
	s_addc_u32 s13, s13, __assert_fail@rel32@hi+12
	s_swappc_b64 s[30:31], s[12:13]
	s_or_b64 s[26:27], s[34:35], exec
                                        ; implicit-def: $vgpr0
                                        ; implicit-def: $vgpr40
                                        ; implicit-def: $vgpr60_vgpr61
.LBB6_2312:
	s_or_saveexec_b64 s[28:29], s[28:29]
	s_mov_b64 s[6:7], 0
	s_xor_b64 exec, exec, s[28:29]
	s_cbranch_execz .LBB6_2514
; %bb.2313:
	v_max_i32_e32 v4, v40, v0
	v_min_i32_e32 v48, v40, v0
	v_xor_b32_e32 v1, 1, v48
	v_xor_b32_e32 v38, 1, v4
	v_cmp_gt_i32_e64 s[4:5], v1, v38
	s_and_saveexec_b64 s[8:9], s[4:5]
	s_cbranch_execz .LBB6_2509
; %bb.2314:
	s_load_dwordx2 s[10:11], s[48:49], 0x50
	v_mbcnt_lo_u32_b32 v2, -1, 0
	v_mbcnt_hi_u32_b32 v5, -1, v2
	v_readfirstlane_b32 s6, v5
	v_cmp_eq_u32_e64 s[6:7], s6, v5
	v_pk_mov_b32 v[2:3], 0, 0
	s_and_saveexec_b64 s[12:13], s[6:7]
	s_cbranch_execz .LBB6_2320
; %bb.2315:
	v_mov_b32_e32 v6, 0
	s_waitcnt lgkmcnt(0)
	global_load_dwordx2 v[10:11], v6, s[10:11] offset:24 glc
	s_waitcnt vmcnt(0)
	buffer_invl2
	buffer_wbinvl1_vol
	global_load_dwordx2 v[2:3], v6, s[10:11] offset:40
	global_load_dwordx2 v[8:9], v6, s[10:11]
	s_waitcnt vmcnt(1)
	v_and_b32_e32 v2, v2, v10
	v_and_b32_e32 v3, v3, v11
	v_mul_lo_u32 v3, v3, 24
	v_mul_hi_u32 v7, v2, 24
	v_mul_lo_u32 v2, v2, 24
	v_add_u32_e32 v3, v7, v3
	s_waitcnt vmcnt(0)
	v_add_co_u32_e32 v2, vcc, v8, v2
	v_addc_co_u32_e32 v3, vcc, v9, v3, vcc
	global_load_dwordx2 v[8:9], v[2:3], off glc
	s_waitcnt vmcnt(0)
	global_atomic_cmpswap_x2 v[2:3], v6, v[8:11], s[10:11] offset:24 glc
	s_waitcnt vmcnt(0)
	buffer_invl2
	buffer_wbinvl1_vol
	v_cmp_ne_u64_e32 vcc, v[2:3], v[10:11]
	s_and_saveexec_b64 s[14:15], vcc
	s_cbranch_execz .LBB6_2319
; %bb.2316:
	s_mov_b64 s[16:17], 0
.LBB6_2317:                             ; =>This Inner Loop Header: Depth=1
	s_sleep 1
	global_load_dwordx2 v[8:9], v6, s[10:11] offset:40
	global_load_dwordx2 v[12:13], v6, s[10:11]
	v_pk_mov_b32 v[10:11], v[2:3], v[2:3] op_sel:[0,1]
	s_waitcnt vmcnt(1)
	v_and_b32_e32 v2, v8, v10
	s_waitcnt vmcnt(0)
	v_mad_u64_u32 v[2:3], s[18:19], v2, 24, v[12:13]
	v_and_b32_e32 v7, v9, v11
	v_mov_b32_e32 v8, v3
	v_mad_u64_u32 v[8:9], s[18:19], v7, 24, v[8:9]
	v_mov_b32_e32 v3, v8
	global_load_dwordx2 v[8:9], v[2:3], off glc
	s_waitcnt vmcnt(0)
	global_atomic_cmpswap_x2 v[2:3], v6, v[8:11], s[10:11] offset:24 glc
	s_waitcnt vmcnt(0)
	buffer_invl2
	buffer_wbinvl1_vol
	v_cmp_eq_u64_e32 vcc, v[2:3], v[10:11]
	s_or_b64 s[16:17], vcc, s[16:17]
	s_andn2_b64 exec, exec, s[16:17]
	s_cbranch_execnz .LBB6_2317
; %bb.2318:
	s_or_b64 exec, exec, s[16:17]
.LBB6_2319:
	s_or_b64 exec, exec, s[14:15]
.LBB6_2320:
	s_or_b64 exec, exec, s[12:13]
	v_mov_b32_e32 v11, 0
	s_waitcnt lgkmcnt(0)
	global_load_dwordx2 v[12:13], v11, s[10:11] offset:40
	global_load_dwordx4 v[6:9], v11, s[10:11]
	v_readfirstlane_b32 s12, v2
	v_readfirstlane_b32 s13, v3
	s_mov_b64 s[14:15], exec
	s_waitcnt vmcnt(1)
	v_readfirstlane_b32 s16, v12
	v_readfirstlane_b32 s17, v13
	s_and_b64 s[16:17], s[12:13], s[16:17]
	s_mul_i32 s18, s17, 24
	s_mul_hi_u32 s19, s16, 24
	s_mul_i32 s20, s16, 24
	s_add_i32 s18, s19, s18
	v_mov_b32_e32 v3, s18
	s_waitcnt vmcnt(0)
	v_add_co_u32_e32 v2, vcc, s20, v6
	v_addc_co_u32_e32 v3, vcc, v7, v3, vcc
	s_and_saveexec_b64 s[18:19], s[6:7]
	s_cbranch_execz .LBB6_2322
; %bb.2321:
	v_pk_mov_b32 v[12:13], s[14:15], s[14:15] op_sel:[0,1]
	v_mov_b32_e32 v14, 2
	v_mov_b32_e32 v15, 1
	global_store_dwordx4 v[2:3], v[12:15], off offset:8
.LBB6_2322:
	s_or_b64 exec, exec, s[18:19]
	s_lshl_b64 s[14:15], s[16:17], 12
	v_mov_b32_e32 v10, s15
	v_add_co_u32_e32 v8, vcc, s14, v8
	v_addc_co_u32_e32 v9, vcc, v9, v10, vcc
	s_mov_b32 s16, 0
	v_lshlrev_b32_e32 v39, 6, v5
	v_add_co_u32_e32 v14, vcc, v8, v39
	v_mov_b32_e32 v10, 33
	v_mov_b32_e32 v12, v11
	;; [unrolled: 1-line block ×3, first 2 shown]
	v_readfirstlane_b32 s14, v8
	v_readfirstlane_b32 s15, v9
	s_mov_b32 s17, s16
	v_addc_co_u32_e32 v15, vcc, 0, v9, vcc
	s_mov_b32 s18, s16
	s_mov_b32 s19, s16
	s_nop 0
	global_store_dwordx4 v39, v[10:13], s[14:15]
	v_pk_mov_b32 v[8:9], s[16:17], s[16:17] op_sel:[0,1]
	v_pk_mov_b32 v[10:11], s[18:19], s[18:19] op_sel:[0,1]
	global_store_dwordx4 v39, v[8:11], s[14:15] offset:16
	global_store_dwordx4 v39, v[8:11], s[14:15] offset:32
	;; [unrolled: 1-line block ×3, first 2 shown]
	s_and_saveexec_b64 s[14:15], s[6:7]
	s_cbranch_execz .LBB6_2330
; %bb.2323:
	v_mov_b32_e32 v12, 0
	global_load_dwordx2 v[18:19], v12, s[10:11] offset:32 glc
	global_load_dwordx2 v[8:9], v12, s[10:11] offset:40
	v_mov_b32_e32 v16, s12
	v_mov_b32_e32 v17, s13
	s_waitcnt vmcnt(0)
	v_and_b32_e32 v8, s12, v8
	v_and_b32_e32 v9, s13, v9
	v_mul_lo_u32 v9, v9, 24
	v_mul_hi_u32 v10, v8, 24
	v_mul_lo_u32 v8, v8, 24
	v_add_u32_e32 v9, v10, v9
	v_add_co_u32_e32 v10, vcc, v6, v8
	v_addc_co_u32_e32 v11, vcc, v7, v9, vcc
	global_store_dwordx2 v[10:11], v[18:19], off
	buffer_wbl2
	s_waitcnt vmcnt(0)
	global_atomic_cmpswap_x2 v[8:9], v12, v[16:19], s[10:11] offset:32 glc
	s_waitcnt vmcnt(0)
	v_cmp_ne_u64_e32 vcc, v[8:9], v[18:19]
	s_and_saveexec_b64 s[16:17], vcc
	s_cbranch_execz .LBB6_2326
; %bb.2324:
	s_mov_b64 s[18:19], 0
.LBB6_2325:                             ; =>This Inner Loop Header: Depth=1
	s_sleep 1
	global_store_dwordx2 v[10:11], v[8:9], off
	v_mov_b32_e32 v6, s12
	v_mov_b32_e32 v7, s13
	buffer_wbl2
	s_waitcnt vmcnt(0)
	global_atomic_cmpswap_x2 v[6:7], v12, v[6:9], s[10:11] offset:32 glc
	s_waitcnt vmcnt(0)
	v_cmp_eq_u64_e32 vcc, v[6:7], v[8:9]
	s_or_b64 s[18:19], vcc, s[18:19]
	v_pk_mov_b32 v[8:9], v[6:7], v[6:7] op_sel:[0,1]
	s_andn2_b64 exec, exec, s[18:19]
	s_cbranch_execnz .LBB6_2325
.LBB6_2326:
	s_or_b64 exec, exec, s[16:17]
	v_mov_b32_e32 v9, 0
	global_load_dwordx2 v[6:7], v9, s[10:11] offset:16
	s_mov_b64 s[16:17], exec
	v_mbcnt_lo_u32_b32 v8, s16, 0
	v_mbcnt_hi_u32_b32 v8, s17, v8
	v_cmp_eq_u32_e32 vcc, 0, v8
	s_and_saveexec_b64 s[18:19], vcc
	s_cbranch_execz .LBB6_2328
; %bb.2327:
	s_bcnt1_i32_b64 s16, s[16:17]
	v_mov_b32_e32 v8, s16
	buffer_wbl2
	s_waitcnt vmcnt(0)
	global_atomic_add_x2 v[6:7], v[8:9], off offset:8
.LBB6_2328:
	s_or_b64 exec, exec, s[18:19]
	s_waitcnt vmcnt(0)
	global_load_dwordx2 v[8:9], v[6:7], off offset:16
	s_waitcnt vmcnt(0)
	v_cmp_eq_u64_e32 vcc, 0, v[8:9]
	s_cbranch_vccnz .LBB6_2330
; %bb.2329:
	global_load_dword v6, v[6:7], off offset:24
	v_mov_b32_e32 v7, 0
	buffer_wbl2
	s_waitcnt vmcnt(0)
	global_store_dwordx2 v[8:9], v[6:7], off
	v_and_b32_e32 v6, 0xffffff, v6
	v_readfirstlane_b32 m0, v6
	s_sendmsg sendmsg(MSG_INTERRUPT)
.LBB6_2330:
	s_or_b64 exec, exec, s[14:15]
	s_branch .LBB6_2332
.LBB6_2331:
	s_branch .LBB6_2336
.LBB6_2332:                             ; =>This Inner Loop Header: Depth=1
	v_mov_b32_e32 v6, 1
	s_and_saveexec_b64 s[14:15], s[6:7]
	s_cbranch_execz .LBB6_2334
; %bb.2333:                             ;   in Loop: Header=BB6_2332 Depth=1
	global_load_dword v6, v[2:3], off offset:20 glc
	s_waitcnt vmcnt(0)
	buffer_invl2
	buffer_wbinvl1_vol
	v_and_b32_e32 v6, 1, v6
.LBB6_2334:                             ;   in Loop: Header=BB6_2332 Depth=1
	s_or_b64 exec, exec, s[14:15]
	v_readfirstlane_b32 s14, v6
	s_cmp_eq_u32 s14, 0
	s_cbranch_scc1 .LBB6_2331
; %bb.2335:                             ;   in Loop: Header=BB6_2332 Depth=1
	s_sleep 1
	s_cbranch_execnz .LBB6_2332
.LBB6_2336:
	global_load_dwordx2 v[6:7], v[14:15], off
	s_and_saveexec_b64 s[14:15], s[6:7]
	s_cbranch_execz .LBB6_2339
; %bb.2337:
	v_mov_b32_e32 v12, 0
	global_load_dwordx2 v[2:3], v12, s[10:11] offset:40
	global_load_dwordx2 v[14:15], v12, s[10:11] offset:24 glc
	global_load_dwordx2 v[16:17], v12, s[10:11]
	v_mov_b32_e32 v9, s13
	s_mov_b64 s[6:7], 0
	s_waitcnt vmcnt(2)
	v_add_co_u32_e32 v11, vcc, 1, v2
	v_addc_co_u32_e32 v13, vcc, 0, v3, vcc
	v_add_co_u32_e32 v8, vcc, s12, v11
	v_addc_co_u32_e32 v9, vcc, v13, v9, vcc
	v_cmp_eq_u64_e32 vcc, 0, v[8:9]
	v_cndmask_b32_e32 v9, v9, v13, vcc
	v_cndmask_b32_e32 v8, v8, v11, vcc
	v_and_b32_e32 v3, v9, v3
	v_and_b32_e32 v2, v8, v2
	v_mul_lo_u32 v3, v3, 24
	v_mul_hi_u32 v11, v2, 24
	v_mul_lo_u32 v2, v2, 24
	v_add_u32_e32 v3, v11, v3
	s_waitcnt vmcnt(0)
	v_add_co_u32_e32 v2, vcc, v16, v2
	v_addc_co_u32_e32 v3, vcc, v17, v3, vcc
	v_mov_b32_e32 v10, v14
	global_store_dwordx2 v[2:3], v[14:15], off
	v_mov_b32_e32 v11, v15
	buffer_wbl2
	s_waitcnt vmcnt(0)
	global_atomic_cmpswap_x2 v[10:11], v12, v[8:11], s[10:11] offset:24 glc
	s_waitcnt vmcnt(0)
	v_cmp_ne_u64_e32 vcc, v[10:11], v[14:15]
	s_and_b64 exec, exec, vcc
	s_cbranch_execz .LBB6_2339
.LBB6_2338:                             ; =>This Inner Loop Header: Depth=1
	s_sleep 1
	global_store_dwordx2 v[2:3], v[10:11], off
	buffer_wbl2
	s_waitcnt vmcnt(0)
	global_atomic_cmpswap_x2 v[14:15], v12, v[8:11], s[10:11] offset:24 glc
	s_waitcnt vmcnt(0)
	v_cmp_eq_u64_e32 vcc, v[14:15], v[10:11]
	s_or_b64 s[6:7], vcc, s[6:7]
	v_pk_mov_b32 v[10:11], v[14:15], v[14:15] op_sel:[0,1]
	s_andn2_b64 exec, exec, s[6:7]
	s_cbranch_execnz .LBB6_2338
.LBB6_2339:
	s_or_b64 exec, exec, s[14:15]
	s_getpc_b64 s[12:13]
	s_add_u32 s12, s12, .str.45@rel32@lo+4
	s_addc_u32 s13, s13, .str.45@rel32@hi+12
	s_cmp_lg_u64 s[12:13], 0
	s_cbranch_scc0 .LBB6_2431
; %bb.2340:
	s_waitcnt vmcnt(0)
	v_and_b32_e32 v2, 2, v6
	v_mov_b32_e32 v35, 0
	v_and_b32_e32 v8, -3, v6
	v_mov_b32_e32 v9, v7
	s_mov_b64 s[14:15], 7
	v_mov_b32_e32 v12, 2
	v_mov_b32_e32 v13, 1
	s_branch .LBB6_2342
.LBB6_2341:                             ;   in Loop: Header=BB6_2342 Depth=1
	s_or_b64 exec, exec, s[20:21]
	s_sub_u32 s14, s14, s16
	s_subb_u32 s15, s15, s17
	s_add_u32 s12, s12, s16
	s_addc_u32 s13, s13, s17
	s_cmp_lg_u64 s[14:15], 0
	s_cbranch_scc0 .LBB6_2430
.LBB6_2342:                             ; =>This Loop Header: Depth=1
                                        ;     Child Loop BB6_2345 Depth 2
                                        ;     Child Loop BB6_2353 Depth 2
	;; [unrolled: 1-line block ×11, first 2 shown]
	v_cmp_lt_u64_e64 s[6:7], s[14:15], 56
	s_and_b64 s[6:7], s[6:7], exec
	v_cmp_gt_u64_e64 s[6:7], s[14:15], 7
	s_cselect_b32 s17, s15, 0
	s_cselect_b32 s16, s14, 56
	s_and_b64 vcc, exec, s[6:7]
	s_cbranch_vccnz .LBB6_2347
; %bb.2343:                             ;   in Loop: Header=BB6_2342 Depth=1
	s_mov_b64 s[6:7], 0
	s_cmp_eq_u64 s[14:15], 0
	v_pk_mov_b32 v[16:17], 0, 0
	s_cbranch_scc1 .LBB6_2346
; %bb.2344:                             ;   in Loop: Header=BB6_2342 Depth=1
	s_lshl_b64 s[18:19], s[16:17], 3
	s_mov_b64 s[20:21], 0
	v_pk_mov_b32 v[16:17], 0, 0
	s_mov_b64 s[22:23], s[12:13]
.LBB6_2345:                             ;   Parent Loop BB6_2342 Depth=1
                                        ; =>  This Inner Loop Header: Depth=2
	global_load_ubyte v3, v35, s[22:23]
	s_waitcnt vmcnt(0)
	v_and_b32_e32 v34, 0xffff, v3
	v_lshlrev_b64 v[10:11], s20, v[34:35]
	s_add_u32 s20, s20, 8
	s_addc_u32 s21, s21, 0
	s_add_u32 s22, s22, 1
	s_addc_u32 s23, s23, 0
	v_or_b32_e32 v16, v10, v16
	s_cmp_lg_u32 s18, s20
	v_or_b32_e32 v17, v11, v17
	s_cbranch_scc1 .LBB6_2345
.LBB6_2346:                             ;   in Loop: Header=BB6_2342 Depth=1
	s_mov_b32 s22, 0
	s_branch .LBB6_2348
.LBB6_2347:                             ;   in Loop: Header=BB6_2342 Depth=1
	s_mov_b64 s[6:7], -1
                                        ; implicit-def: $vgpr16_vgpr17
                                        ; implicit-def: $sgpr22
.LBB6_2348:                             ;   in Loop: Header=BB6_2342 Depth=1
	s_andn2_b64 vcc, exec, s[6:7]
	s_mov_b64 s[6:7], s[12:13]
	s_cbranch_vccnz .LBB6_2350
; %bb.2349:                             ;   in Loop: Header=BB6_2342 Depth=1
	global_load_dwordx2 v[16:17], v35, s[12:13]
	s_add_i32 s22, s16, -8
	s_add_u32 s6, s12, 8
	s_addc_u32 s7, s13, 0
.LBB6_2350:                             ;   in Loop: Header=BB6_2342 Depth=1
	s_cmp_gt_u32 s22, 7
	s_cbranch_scc1 .LBB6_2354
; %bb.2351:                             ;   in Loop: Header=BB6_2342 Depth=1
	s_cmp_eq_u32 s22, 0
	s_cbranch_scc1 .LBB6_2355
; %bb.2352:                             ;   in Loop: Header=BB6_2342 Depth=1
	s_mov_b64 s[18:19], 0
	v_pk_mov_b32 v[18:19], 0, 0
	s_mov_b64 s[20:21], 0
.LBB6_2353:                             ;   Parent Loop BB6_2342 Depth=1
                                        ; =>  This Inner Loop Header: Depth=2
	s_add_u32 s24, s6, s20
	s_addc_u32 s25, s7, s21
	global_load_ubyte v3, v35, s[24:25]
	s_add_u32 s20, s20, 1
	s_addc_u32 s21, s21, 0
	s_waitcnt vmcnt(0)
	v_and_b32_e32 v34, 0xffff, v3
	v_lshlrev_b64 v[10:11], s18, v[34:35]
	s_add_u32 s18, s18, 8
	s_addc_u32 s19, s19, 0
	v_or_b32_e32 v18, v10, v18
	s_cmp_lg_u32 s22, s20
	v_or_b32_e32 v19, v11, v19
	s_cbranch_scc1 .LBB6_2353
	s_branch .LBB6_2356
.LBB6_2354:                             ;   in Loop: Header=BB6_2342 Depth=1
	s_mov_b64 s[18:19], -1
                                        ; implicit-def: $vgpr18_vgpr19
                                        ; implicit-def: $sgpr23
	s_branch .LBB6_2357
.LBB6_2355:                             ;   in Loop: Header=BB6_2342 Depth=1
	v_pk_mov_b32 v[18:19], 0, 0
.LBB6_2356:                             ;   in Loop: Header=BB6_2342 Depth=1
	s_mov_b64 s[18:19], 0
	s_mov_b32 s23, 0
.LBB6_2357:                             ;   in Loop: Header=BB6_2342 Depth=1
	s_andn2_b64 vcc, exec, s[18:19]
	s_cbranch_vccnz .LBB6_2359
; %bb.2358:                             ;   in Loop: Header=BB6_2342 Depth=1
	global_load_dwordx2 v[18:19], v35, s[6:7]
	s_add_i32 s23, s22, -8
	s_add_u32 s6, s6, 8
	s_addc_u32 s7, s7, 0
.LBB6_2359:                             ;   in Loop: Header=BB6_2342 Depth=1
	s_cmp_gt_u32 s23, 7
	s_cbranch_scc1 .LBB6_2363
; %bb.2360:                             ;   in Loop: Header=BB6_2342 Depth=1
	s_cmp_eq_u32 s23, 0
	s_cbranch_scc1 .LBB6_2364
; %bb.2361:                             ;   in Loop: Header=BB6_2342 Depth=1
	s_mov_b64 s[18:19], 0
	v_pk_mov_b32 v[20:21], 0, 0
	s_mov_b64 s[20:21], 0
.LBB6_2362:                             ;   Parent Loop BB6_2342 Depth=1
                                        ; =>  This Inner Loop Header: Depth=2
	s_add_u32 s24, s6, s20
	s_addc_u32 s25, s7, s21
	global_load_ubyte v3, v35, s[24:25]
	s_add_u32 s20, s20, 1
	s_addc_u32 s21, s21, 0
	s_waitcnt vmcnt(0)
	v_and_b32_e32 v34, 0xffff, v3
	v_lshlrev_b64 v[10:11], s18, v[34:35]
	s_add_u32 s18, s18, 8
	s_addc_u32 s19, s19, 0
	v_or_b32_e32 v20, v10, v20
	s_cmp_lg_u32 s23, s20
	v_or_b32_e32 v21, v11, v21
	s_cbranch_scc1 .LBB6_2362
	s_branch .LBB6_2365
.LBB6_2363:                             ;   in Loop: Header=BB6_2342 Depth=1
	s_mov_b64 s[18:19], -1
                                        ; implicit-def: $sgpr22
	s_branch .LBB6_2366
.LBB6_2364:                             ;   in Loop: Header=BB6_2342 Depth=1
	v_pk_mov_b32 v[20:21], 0, 0
.LBB6_2365:                             ;   in Loop: Header=BB6_2342 Depth=1
	s_mov_b64 s[18:19], 0
	s_mov_b32 s22, 0
.LBB6_2366:                             ;   in Loop: Header=BB6_2342 Depth=1
	s_andn2_b64 vcc, exec, s[18:19]
	s_cbranch_vccnz .LBB6_2368
; %bb.2367:                             ;   in Loop: Header=BB6_2342 Depth=1
	global_load_dwordx2 v[20:21], v35, s[6:7]
	s_add_i32 s22, s23, -8
	s_add_u32 s6, s6, 8
	s_addc_u32 s7, s7, 0
.LBB6_2368:                             ;   in Loop: Header=BB6_2342 Depth=1
	s_cmp_gt_u32 s22, 7
	s_cbranch_scc1 .LBB6_2372
; %bb.2369:                             ;   in Loop: Header=BB6_2342 Depth=1
	s_cmp_eq_u32 s22, 0
	s_cbranch_scc1 .LBB6_2373
; %bb.2370:                             ;   in Loop: Header=BB6_2342 Depth=1
	s_mov_b64 s[18:19], 0
	v_pk_mov_b32 v[22:23], 0, 0
	s_mov_b64 s[20:21], 0
.LBB6_2371:                             ;   Parent Loop BB6_2342 Depth=1
                                        ; =>  This Inner Loop Header: Depth=2
	s_add_u32 s24, s6, s20
	s_addc_u32 s25, s7, s21
	global_load_ubyte v3, v35, s[24:25]
	s_add_u32 s20, s20, 1
	s_addc_u32 s21, s21, 0
	s_waitcnt vmcnt(0)
	v_and_b32_e32 v34, 0xffff, v3
	v_lshlrev_b64 v[10:11], s18, v[34:35]
	s_add_u32 s18, s18, 8
	s_addc_u32 s19, s19, 0
	v_or_b32_e32 v22, v10, v22
	s_cmp_lg_u32 s22, s20
	v_or_b32_e32 v23, v11, v23
	s_cbranch_scc1 .LBB6_2371
	s_branch .LBB6_2374
.LBB6_2372:                             ;   in Loop: Header=BB6_2342 Depth=1
	s_mov_b64 s[18:19], -1
                                        ; implicit-def: $vgpr22_vgpr23
                                        ; implicit-def: $sgpr23
	s_branch .LBB6_2375
.LBB6_2373:                             ;   in Loop: Header=BB6_2342 Depth=1
	v_pk_mov_b32 v[22:23], 0, 0
.LBB6_2374:                             ;   in Loop: Header=BB6_2342 Depth=1
	s_mov_b64 s[18:19], 0
	s_mov_b32 s23, 0
.LBB6_2375:                             ;   in Loop: Header=BB6_2342 Depth=1
	s_andn2_b64 vcc, exec, s[18:19]
	s_cbranch_vccnz .LBB6_2377
; %bb.2376:                             ;   in Loop: Header=BB6_2342 Depth=1
	global_load_dwordx2 v[22:23], v35, s[6:7]
	s_add_i32 s23, s22, -8
	s_add_u32 s6, s6, 8
	s_addc_u32 s7, s7, 0
.LBB6_2377:                             ;   in Loop: Header=BB6_2342 Depth=1
	s_cmp_gt_u32 s23, 7
	s_cbranch_scc1 .LBB6_2381
; %bb.2378:                             ;   in Loop: Header=BB6_2342 Depth=1
	s_cmp_eq_u32 s23, 0
	s_cbranch_scc1 .LBB6_2382
; %bb.2379:                             ;   in Loop: Header=BB6_2342 Depth=1
	s_mov_b64 s[18:19], 0
	v_pk_mov_b32 v[24:25], 0, 0
	s_mov_b64 s[20:21], 0
.LBB6_2380:                             ;   Parent Loop BB6_2342 Depth=1
                                        ; =>  This Inner Loop Header: Depth=2
	s_add_u32 s24, s6, s20
	s_addc_u32 s25, s7, s21
	global_load_ubyte v3, v35, s[24:25]
	s_add_u32 s20, s20, 1
	s_addc_u32 s21, s21, 0
	s_waitcnt vmcnt(0)
	v_and_b32_e32 v34, 0xffff, v3
	v_lshlrev_b64 v[10:11], s18, v[34:35]
	s_add_u32 s18, s18, 8
	s_addc_u32 s19, s19, 0
	v_or_b32_e32 v24, v10, v24
	s_cmp_lg_u32 s23, s20
	v_or_b32_e32 v25, v11, v25
	s_cbranch_scc1 .LBB6_2380
	s_branch .LBB6_2383
.LBB6_2381:                             ;   in Loop: Header=BB6_2342 Depth=1
	s_mov_b64 s[18:19], -1
                                        ; implicit-def: $sgpr22
	s_branch .LBB6_2384
.LBB6_2382:                             ;   in Loop: Header=BB6_2342 Depth=1
	v_pk_mov_b32 v[24:25], 0, 0
.LBB6_2383:                             ;   in Loop: Header=BB6_2342 Depth=1
	s_mov_b64 s[18:19], 0
	s_mov_b32 s22, 0
.LBB6_2384:                             ;   in Loop: Header=BB6_2342 Depth=1
	s_andn2_b64 vcc, exec, s[18:19]
	s_cbranch_vccnz .LBB6_2386
; %bb.2385:                             ;   in Loop: Header=BB6_2342 Depth=1
	global_load_dwordx2 v[24:25], v35, s[6:7]
	s_add_i32 s22, s23, -8
	s_add_u32 s6, s6, 8
	s_addc_u32 s7, s7, 0
.LBB6_2386:                             ;   in Loop: Header=BB6_2342 Depth=1
	s_cmp_gt_u32 s22, 7
	s_cbranch_scc1 .LBB6_2390
; %bb.2387:                             ;   in Loop: Header=BB6_2342 Depth=1
	s_cmp_eq_u32 s22, 0
	s_cbranch_scc1 .LBB6_2391
; %bb.2388:                             ;   in Loop: Header=BB6_2342 Depth=1
	s_mov_b64 s[18:19], 0
	v_pk_mov_b32 v[26:27], 0, 0
	s_mov_b64 s[20:21], 0
.LBB6_2389:                             ;   Parent Loop BB6_2342 Depth=1
                                        ; =>  This Inner Loop Header: Depth=2
	s_add_u32 s24, s6, s20
	s_addc_u32 s25, s7, s21
	global_load_ubyte v3, v35, s[24:25]
	s_add_u32 s20, s20, 1
	s_addc_u32 s21, s21, 0
	s_waitcnt vmcnt(0)
	v_and_b32_e32 v34, 0xffff, v3
	v_lshlrev_b64 v[10:11], s18, v[34:35]
	s_add_u32 s18, s18, 8
	s_addc_u32 s19, s19, 0
	v_or_b32_e32 v26, v10, v26
	s_cmp_lg_u32 s22, s20
	v_or_b32_e32 v27, v11, v27
	s_cbranch_scc1 .LBB6_2389
	s_branch .LBB6_2392
.LBB6_2390:                             ;   in Loop: Header=BB6_2342 Depth=1
	s_mov_b64 s[18:19], -1
                                        ; implicit-def: $vgpr26_vgpr27
                                        ; implicit-def: $sgpr23
	s_branch .LBB6_2393
.LBB6_2391:                             ;   in Loop: Header=BB6_2342 Depth=1
	v_pk_mov_b32 v[26:27], 0, 0
.LBB6_2392:                             ;   in Loop: Header=BB6_2342 Depth=1
	s_mov_b64 s[18:19], 0
	s_mov_b32 s23, 0
.LBB6_2393:                             ;   in Loop: Header=BB6_2342 Depth=1
	s_andn2_b64 vcc, exec, s[18:19]
	s_cbranch_vccnz .LBB6_2395
; %bb.2394:                             ;   in Loop: Header=BB6_2342 Depth=1
	global_load_dwordx2 v[26:27], v35, s[6:7]
	s_add_i32 s23, s22, -8
	s_add_u32 s6, s6, 8
	s_addc_u32 s7, s7, 0
.LBB6_2395:                             ;   in Loop: Header=BB6_2342 Depth=1
	s_cmp_gt_u32 s23, 7
	s_cbranch_scc1 .LBB6_2399
; %bb.2396:                             ;   in Loop: Header=BB6_2342 Depth=1
	s_cmp_eq_u32 s23, 0
	s_cbranch_scc1 .LBB6_2400
; %bb.2397:                             ;   in Loop: Header=BB6_2342 Depth=1
	s_mov_b64 s[18:19], 0
	v_pk_mov_b32 v[28:29], 0, 0
	s_mov_b64 s[20:21], s[6:7]
.LBB6_2398:                             ;   Parent Loop BB6_2342 Depth=1
                                        ; =>  This Inner Loop Header: Depth=2
	global_load_ubyte v3, v35, s[20:21]
	s_add_i32 s23, s23, -1
	s_waitcnt vmcnt(0)
	v_and_b32_e32 v34, 0xffff, v3
	v_lshlrev_b64 v[10:11], s18, v[34:35]
	s_add_u32 s18, s18, 8
	s_addc_u32 s19, s19, 0
	s_add_u32 s20, s20, 1
	s_addc_u32 s21, s21, 0
	v_or_b32_e32 v28, v10, v28
	s_cmp_lg_u32 s23, 0
	v_or_b32_e32 v29, v11, v29
	s_cbranch_scc1 .LBB6_2398
	s_branch .LBB6_2401
.LBB6_2399:                             ;   in Loop: Header=BB6_2342 Depth=1
	s_mov_b64 s[18:19], -1
	s_branch .LBB6_2402
.LBB6_2400:                             ;   in Loop: Header=BB6_2342 Depth=1
	v_pk_mov_b32 v[28:29], 0, 0
.LBB6_2401:                             ;   in Loop: Header=BB6_2342 Depth=1
	s_mov_b64 s[18:19], 0
.LBB6_2402:                             ;   in Loop: Header=BB6_2342 Depth=1
	s_andn2_b64 vcc, exec, s[18:19]
	s_cbranch_vccnz .LBB6_2404
; %bb.2403:                             ;   in Loop: Header=BB6_2342 Depth=1
	global_load_dwordx2 v[28:29], v35, s[6:7]
.LBB6_2404:                             ;   in Loop: Header=BB6_2342 Depth=1
	v_readfirstlane_b32 s6, v5
	v_cmp_eq_u32_e64 s[6:7], s6, v5
	s_waitcnt vmcnt(0)
	v_pk_mov_b32 v[10:11], 0, 0
	s_and_saveexec_b64 s[18:19], s[6:7]
	s_cbranch_execz .LBB6_2410
; %bb.2405:                             ;   in Loop: Header=BB6_2342 Depth=1
	global_load_dwordx2 v[32:33], v35, s[10:11] offset:24 glc
	s_waitcnt vmcnt(0)
	buffer_invl2
	buffer_wbinvl1_vol
	global_load_dwordx2 v[10:11], v35, s[10:11] offset:40
	global_load_dwordx2 v[14:15], v35, s[10:11]
	s_waitcnt vmcnt(1)
	v_and_b32_e32 v3, v10, v32
	v_and_b32_e32 v10, v11, v33
	v_mul_lo_u32 v10, v10, 24
	v_mul_hi_u32 v11, v3, 24
	v_mul_lo_u32 v3, v3, 24
	v_add_u32_e32 v11, v11, v10
	s_waitcnt vmcnt(0)
	v_add_co_u32_e32 v10, vcc, v14, v3
	v_addc_co_u32_e32 v11, vcc, v15, v11, vcc
	global_load_dwordx2 v[30:31], v[10:11], off glc
	s_waitcnt vmcnt(0)
	global_atomic_cmpswap_x2 v[10:11], v35, v[30:33], s[10:11] offset:24 glc
	s_waitcnt vmcnt(0)
	buffer_invl2
	buffer_wbinvl1_vol
	v_cmp_ne_u64_e32 vcc, v[10:11], v[32:33]
	s_and_saveexec_b64 s[20:21], vcc
	s_cbranch_execz .LBB6_2409
; %bb.2406:                             ;   in Loop: Header=BB6_2342 Depth=1
	s_mov_b64 s[22:23], 0
.LBB6_2407:                             ;   Parent Loop BB6_2342 Depth=1
                                        ; =>  This Inner Loop Header: Depth=2
	s_sleep 1
	global_load_dwordx2 v[14:15], v35, s[10:11] offset:40
	global_load_dwordx2 v[30:31], v35, s[10:11]
	v_pk_mov_b32 v[32:33], v[10:11], v[10:11] op_sel:[0,1]
	s_waitcnt vmcnt(1)
	v_and_b32_e32 v10, v14, v32
	s_waitcnt vmcnt(0)
	v_mad_u64_u32 v[10:11], s[24:25], v10, 24, v[30:31]
	v_and_b32_e32 v3, v15, v33
	v_mov_b32_e32 v14, v11
	v_mad_u64_u32 v[14:15], s[24:25], v3, 24, v[14:15]
	v_mov_b32_e32 v11, v14
	global_load_dwordx2 v[30:31], v[10:11], off glc
	s_waitcnt vmcnt(0)
	global_atomic_cmpswap_x2 v[10:11], v35, v[30:33], s[10:11] offset:24 glc
	s_waitcnt vmcnt(0)
	buffer_invl2
	buffer_wbinvl1_vol
	v_cmp_eq_u64_e32 vcc, v[10:11], v[32:33]
	s_or_b64 s[22:23], vcc, s[22:23]
	s_andn2_b64 exec, exec, s[22:23]
	s_cbranch_execnz .LBB6_2407
; %bb.2408:                             ;   in Loop: Header=BB6_2342 Depth=1
	s_or_b64 exec, exec, s[22:23]
.LBB6_2409:                             ;   in Loop: Header=BB6_2342 Depth=1
	s_or_b64 exec, exec, s[20:21]
.LBB6_2410:                             ;   in Loop: Header=BB6_2342 Depth=1
	s_or_b64 exec, exec, s[18:19]
	global_load_dwordx2 v[14:15], v35, s[10:11] offset:40
	global_load_dwordx4 v[30:33], v35, s[10:11]
	v_readfirstlane_b32 s18, v10
	v_readfirstlane_b32 s19, v11
	s_mov_b64 s[20:21], exec
	s_waitcnt vmcnt(1)
	v_readfirstlane_b32 s22, v14
	v_readfirstlane_b32 s23, v15
	s_and_b64 s[22:23], s[18:19], s[22:23]
	s_mul_i32 s24, s23, 24
	s_mul_hi_u32 s25, s22, 24
	s_mul_i32 vcc_lo, s22, 24
	s_add_i32 s24, s25, s24
	v_mov_b32_e32 v3, s24
	s_waitcnt vmcnt(0)
	v_add_co_u32_e32 v36, vcc, vcc_lo, v30
	v_addc_co_u32_e32 v37, vcc, v31, v3, vcc
	s_and_saveexec_b64 s[24:25], s[6:7]
	s_cbranch_execz .LBB6_2412
; %bb.2411:                             ;   in Loop: Header=BB6_2342 Depth=1
	v_pk_mov_b32 v[10:11], s[20:21], s[20:21] op_sel:[0,1]
	global_store_dwordx4 v[36:37], v[10:13], off offset:8
.LBB6_2412:                             ;   in Loop: Header=BB6_2342 Depth=1
	s_or_b64 exec, exec, s[24:25]
	s_lshl_b64 s[20:21], s[22:23], 12
	v_mov_b32_e32 v3, s21
	v_add_co_u32_e32 v32, vcc, s20, v32
	v_addc_co_u32_e32 v3, vcc, v33, v3, vcc
	v_or_b32_e32 v11, v8, v2
	v_cmp_gt_u64_e64 vcc, s[14:15], 56
	s_lshl_b32 s20, s16, 2
	v_cndmask_b32_e32 v8, v11, v8, vcc
	s_add_i32 s20, s20, 28
	v_or_b32_e32 v10, 0, v9
	s_and_b32 s20, s20, 0x1e0
	v_and_b32_e32 v8, 0xffffff1f, v8
	v_cndmask_b32_e32 v15, v10, v9, vcc
	v_or_b32_e32 v14, s20, v8
	v_readfirstlane_b32 s20, v32
	v_readfirstlane_b32 s21, v3
	s_nop 4
	global_store_dwordx4 v39, v[14:17], s[20:21]
	global_store_dwordx4 v39, v[18:21], s[20:21] offset:16
	global_store_dwordx4 v39, v[22:25], s[20:21] offset:32
	;; [unrolled: 1-line block ×3, first 2 shown]
	s_and_saveexec_b64 s[20:21], s[6:7]
	s_cbranch_execz .LBB6_2420
; %bb.2413:                             ;   in Loop: Header=BB6_2342 Depth=1
	global_load_dwordx2 v[18:19], v35, s[10:11] offset:32 glc
	global_load_dwordx2 v[8:9], v35, s[10:11] offset:40
	v_mov_b32_e32 v16, s18
	v_mov_b32_e32 v17, s19
	s_waitcnt vmcnt(0)
	v_readfirstlane_b32 s22, v8
	v_readfirstlane_b32 s23, v9
	s_and_b64 s[22:23], s[22:23], s[18:19]
	s_mul_i32 s23, s23, 24
	s_mul_hi_u32 s24, s22, 24
	s_mul_i32 s22, s22, 24
	s_add_i32 s23, s24, s23
	v_mov_b32_e32 v8, s23
	v_add_co_u32_e32 v14, vcc, s22, v30
	v_addc_co_u32_e32 v15, vcc, v31, v8, vcc
	global_store_dwordx2 v[14:15], v[18:19], off
	buffer_wbl2
	s_waitcnt vmcnt(0)
	global_atomic_cmpswap_x2 v[10:11], v35, v[16:19], s[10:11] offset:32 glc
	s_waitcnt vmcnt(0)
	v_cmp_ne_u64_e32 vcc, v[10:11], v[18:19]
	s_and_saveexec_b64 s[22:23], vcc
	s_cbranch_execz .LBB6_2416
; %bb.2414:                             ;   in Loop: Header=BB6_2342 Depth=1
	s_mov_b64 s[24:25], 0
.LBB6_2415:                             ;   Parent Loop BB6_2342 Depth=1
                                        ; =>  This Inner Loop Header: Depth=2
	s_sleep 1
	global_store_dwordx2 v[14:15], v[10:11], off
	v_mov_b32_e32 v8, s18
	v_mov_b32_e32 v9, s19
	buffer_wbl2
	s_waitcnt vmcnt(0)
	global_atomic_cmpswap_x2 v[8:9], v35, v[8:11], s[10:11] offset:32 glc
	s_waitcnt vmcnt(0)
	v_cmp_eq_u64_e32 vcc, v[8:9], v[10:11]
	s_or_b64 s[24:25], vcc, s[24:25]
	v_pk_mov_b32 v[10:11], v[8:9], v[8:9] op_sel:[0,1]
	s_andn2_b64 exec, exec, s[24:25]
	s_cbranch_execnz .LBB6_2415
.LBB6_2416:                             ;   in Loop: Header=BB6_2342 Depth=1
	s_or_b64 exec, exec, s[22:23]
	global_load_dwordx2 v[8:9], v35, s[10:11] offset:16
	s_mov_b64 s[24:25], exec
	v_mbcnt_lo_u32_b32 v10, s24, 0
	v_mbcnt_hi_u32_b32 v10, s25, v10
	v_cmp_eq_u32_e32 vcc, 0, v10
	s_and_saveexec_b64 s[22:23], vcc
	s_cbranch_execz .LBB6_2418
; %bb.2417:                             ;   in Loop: Header=BB6_2342 Depth=1
	s_bcnt1_i32_b64 s24, s[24:25]
	v_mov_b32_e32 v34, s24
	buffer_wbl2
	s_waitcnt vmcnt(0)
	global_atomic_add_x2 v[8:9], v[34:35], off offset:8
.LBB6_2418:                             ;   in Loop: Header=BB6_2342 Depth=1
	s_or_b64 exec, exec, s[22:23]
	s_waitcnt vmcnt(0)
	global_load_dwordx2 v[10:11], v[8:9], off offset:16
	s_waitcnt vmcnt(0)
	v_cmp_eq_u64_e32 vcc, 0, v[10:11]
	s_cbranch_vccnz .LBB6_2420
; %bb.2419:                             ;   in Loop: Header=BB6_2342 Depth=1
	global_load_dword v34, v[8:9], off offset:24
	s_waitcnt vmcnt(0)
	v_and_b32_e32 v8, 0xffffff, v34
	v_readfirstlane_b32 m0, v8
	buffer_wbl2
	global_store_dwordx2 v[10:11], v[34:35], off
	s_sendmsg sendmsg(MSG_INTERRUPT)
.LBB6_2420:                             ;   in Loop: Header=BB6_2342 Depth=1
	s_or_b64 exec, exec, s[20:21]
	v_add_co_u32_e32 v8, vcc, v32, v39
	v_addc_co_u32_e32 v9, vcc, 0, v3, vcc
	s_branch .LBB6_2422
.LBB6_2421:                             ;   in Loop: Header=BB6_2342 Depth=1
	s_branch .LBB6_2426
.LBB6_2422:                             ;   Parent Loop BB6_2342 Depth=1
                                        ; =>  This Inner Loop Header: Depth=2
	v_mov_b32_e32 v3, 1
	s_and_saveexec_b64 s[20:21], s[6:7]
	s_cbranch_execz .LBB6_2424
; %bb.2423:                             ;   in Loop: Header=BB6_2422 Depth=2
	global_load_dword v3, v[36:37], off offset:20 glc
	s_waitcnt vmcnt(0)
	buffer_invl2
	buffer_wbinvl1_vol
	v_and_b32_e32 v3, 1, v3
.LBB6_2424:                             ;   in Loop: Header=BB6_2422 Depth=2
	s_or_b64 exec, exec, s[20:21]
	v_readfirstlane_b32 s20, v3
	s_cmp_eq_u32 s20, 0
	s_cbranch_scc1 .LBB6_2421
; %bb.2425:                             ;   in Loop: Header=BB6_2422 Depth=2
	s_sleep 1
	s_cbranch_execnz .LBB6_2422
.LBB6_2426:                             ;   in Loop: Header=BB6_2342 Depth=1
	global_load_dwordx4 v[8:11], v[8:9], off
	s_and_saveexec_b64 s[20:21], s[6:7]
	s_cbranch_execz .LBB6_2341
; %bb.2427:                             ;   in Loop: Header=BB6_2342 Depth=1
	global_load_dwordx2 v[10:11], v35, s[10:11] offset:40
	global_load_dwordx2 v[18:19], v35, s[10:11] offset:24 glc
	global_load_dwordx2 v[20:21], v35, s[10:11]
	v_mov_b32_e32 v3, s19
	s_waitcnt vmcnt(2)
	v_add_co_u32_e32 v17, vcc, 1, v10
	v_addc_co_u32_e32 v22, vcc, 0, v11, vcc
	v_add_co_u32_e32 v14, vcc, s18, v17
	v_addc_co_u32_e32 v15, vcc, v22, v3, vcc
	v_cmp_eq_u64_e32 vcc, 0, v[14:15]
	v_cndmask_b32_e32 v15, v15, v22, vcc
	v_cndmask_b32_e32 v14, v14, v17, vcc
	v_and_b32_e32 v3, v15, v11
	v_and_b32_e32 v10, v14, v10
	v_mul_lo_u32 v3, v3, 24
	v_mul_hi_u32 v11, v10, 24
	v_mul_lo_u32 v10, v10, 24
	v_add_u32_e32 v3, v11, v3
	s_waitcnt vmcnt(0)
	v_add_co_u32_e32 v10, vcc, v20, v10
	v_addc_co_u32_e32 v11, vcc, v21, v3, vcc
	v_mov_b32_e32 v16, v18
	global_store_dwordx2 v[10:11], v[18:19], off
	v_mov_b32_e32 v17, v19
	buffer_wbl2
	s_waitcnt vmcnt(0)
	global_atomic_cmpswap_x2 v[16:17], v35, v[14:17], s[10:11] offset:24 glc
	s_waitcnt vmcnt(0)
	v_cmp_ne_u64_e32 vcc, v[16:17], v[18:19]
	s_and_b64 exec, exec, vcc
	s_cbranch_execz .LBB6_2341
; %bb.2428:                             ;   in Loop: Header=BB6_2342 Depth=1
	s_mov_b64 s[6:7], 0
.LBB6_2429:                             ;   Parent Loop BB6_2342 Depth=1
                                        ; =>  This Inner Loop Header: Depth=2
	s_sleep 1
	global_store_dwordx2 v[10:11], v[16:17], off
	buffer_wbl2
	s_waitcnt vmcnt(0)
	global_atomic_cmpswap_x2 v[18:19], v35, v[14:17], s[10:11] offset:24 glc
	s_waitcnt vmcnt(0)
	v_cmp_eq_u64_e32 vcc, v[18:19], v[16:17]
	s_or_b64 s[6:7], vcc, s[6:7]
	v_pk_mov_b32 v[16:17], v[18:19], v[18:19] op_sel:[0,1]
	s_andn2_b64 exec, exec, s[6:7]
	s_cbranch_execnz .LBB6_2429
	s_branch .LBB6_2341
.LBB6_2430:
	s_mov_b64 s[6:7], 0
	s_branch .LBB6_2432
.LBB6_2431:
	s_mov_b64 s[6:7], -1
                                        ; implicit-def: $vgpr8_vgpr9
.LBB6_2432:
	s_and_b64 vcc, exec, s[6:7]
	s_cbranch_vccz .LBB6_2459
; %bb.2433:
	v_readfirstlane_b32 s6, v5
	v_cmp_eq_u32_e64 s[6:7], s6, v5
	v_pk_mov_b32 v[2:3], 0, 0
	s_and_saveexec_b64 s[12:13], s[6:7]
	s_cbranch_execz .LBB6_2439
; %bb.2434:
	s_waitcnt vmcnt(0)
	v_mov_b32_e32 v8, 0
	global_load_dwordx2 v[12:13], v8, s[10:11] offset:24 glc
	s_waitcnt vmcnt(0)
	buffer_invl2
	buffer_wbinvl1_vol
	global_load_dwordx2 v[2:3], v8, s[10:11] offset:40
	global_load_dwordx2 v[10:11], v8, s[10:11]
	s_waitcnt vmcnt(1)
	v_and_b32_e32 v2, v2, v12
	v_and_b32_e32 v3, v3, v13
	v_mul_lo_u32 v3, v3, 24
	v_mul_hi_u32 v9, v2, 24
	v_mul_lo_u32 v2, v2, 24
	v_add_u32_e32 v3, v9, v3
	s_waitcnt vmcnt(0)
	v_add_co_u32_e32 v2, vcc, v10, v2
	v_addc_co_u32_e32 v3, vcc, v11, v3, vcc
	global_load_dwordx2 v[10:11], v[2:3], off glc
	s_waitcnt vmcnt(0)
	global_atomic_cmpswap_x2 v[2:3], v8, v[10:13], s[10:11] offset:24 glc
	s_waitcnt vmcnt(0)
	buffer_invl2
	buffer_wbinvl1_vol
	v_cmp_ne_u64_e32 vcc, v[2:3], v[12:13]
	s_and_saveexec_b64 s[14:15], vcc
	s_cbranch_execz .LBB6_2438
; %bb.2435:
	s_mov_b64 s[16:17], 0
.LBB6_2436:                             ; =>This Inner Loop Header: Depth=1
	s_sleep 1
	global_load_dwordx2 v[10:11], v8, s[10:11] offset:40
	global_load_dwordx2 v[14:15], v8, s[10:11]
	v_pk_mov_b32 v[12:13], v[2:3], v[2:3] op_sel:[0,1]
	s_waitcnt vmcnt(1)
	v_and_b32_e32 v2, v10, v12
	s_waitcnt vmcnt(0)
	v_mad_u64_u32 v[2:3], s[18:19], v2, 24, v[14:15]
	v_and_b32_e32 v9, v11, v13
	v_mov_b32_e32 v10, v3
	v_mad_u64_u32 v[10:11], s[18:19], v9, 24, v[10:11]
	v_mov_b32_e32 v3, v10
	global_load_dwordx2 v[10:11], v[2:3], off glc
	s_waitcnt vmcnt(0)
	global_atomic_cmpswap_x2 v[2:3], v8, v[10:13], s[10:11] offset:24 glc
	s_waitcnt vmcnt(0)
	buffer_invl2
	buffer_wbinvl1_vol
	v_cmp_eq_u64_e32 vcc, v[2:3], v[12:13]
	s_or_b64 s[16:17], vcc, s[16:17]
	s_andn2_b64 exec, exec, s[16:17]
	s_cbranch_execnz .LBB6_2436
; %bb.2437:
	s_or_b64 exec, exec, s[16:17]
.LBB6_2438:
	s_or_b64 exec, exec, s[14:15]
.LBB6_2439:
	s_or_b64 exec, exec, s[12:13]
	s_waitcnt vmcnt(0)
	v_mov_b32_e32 v8, 0
	global_load_dwordx2 v[14:15], v8, s[10:11] offset:40
	global_load_dwordx4 v[10:13], v8, s[10:11]
	v_readfirstlane_b32 s12, v2
	v_readfirstlane_b32 s13, v3
	s_mov_b64 s[14:15], exec
	s_waitcnt vmcnt(1)
	v_readfirstlane_b32 s16, v14
	v_readfirstlane_b32 s17, v15
	s_and_b64 s[16:17], s[12:13], s[16:17]
	s_mul_i32 s18, s17, 24
	s_mul_hi_u32 s19, s16, 24
	s_mul_i32 s20, s16, 24
	s_add_i32 s18, s19, s18
	v_mov_b32_e32 v3, s18
	s_waitcnt vmcnt(0)
	v_add_co_u32_e32 v2, vcc, s20, v10
	v_addc_co_u32_e32 v3, vcc, v11, v3, vcc
	s_and_saveexec_b64 s[18:19], s[6:7]
	s_cbranch_execz .LBB6_2441
; %bb.2440:
	v_pk_mov_b32 v[14:15], s[14:15], s[14:15] op_sel:[0,1]
	v_mov_b32_e32 v16, 2
	v_mov_b32_e32 v17, 1
	global_store_dwordx4 v[2:3], v[14:17], off offset:8
.LBB6_2441:
	s_or_b64 exec, exec, s[18:19]
	s_lshl_b64 s[14:15], s[16:17], 12
	v_mov_b32_e32 v9, s15
	v_add_co_u32_e32 v14, vcc, s14, v12
	v_addc_co_u32_e32 v15, vcc, v13, v9, vcc
	s_movk_i32 s14, 0xff1f
	s_mov_b32 s16, 0
	v_and_or_b32 v6, v6, s14, 32
	v_mov_b32_e32 v9, v8
	v_readfirstlane_b32 s14, v14
	v_readfirstlane_b32 s15, v15
	s_mov_b32 s17, s16
	v_add_co_u32_e32 v12, vcc, v14, v39
	s_mov_b32 s18, s16
	s_mov_b32 s19, s16
	s_nop 0
	global_store_dwordx4 v39, v[6:9], s[14:15]
	v_addc_co_u32_e32 v13, vcc, 0, v15, vcc
	v_pk_mov_b32 v[6:7], s[16:17], s[16:17] op_sel:[0,1]
	v_pk_mov_b32 v[8:9], s[18:19], s[18:19] op_sel:[0,1]
	global_store_dwordx4 v39, v[6:9], s[14:15] offset:16
	global_store_dwordx4 v39, v[6:9], s[14:15] offset:32
	;; [unrolled: 1-line block ×3, first 2 shown]
	s_and_saveexec_b64 s[14:15], s[6:7]
	s_cbranch_execz .LBB6_2449
; %bb.2442:
	v_mov_b32_e32 v14, 0
	global_load_dwordx2 v[18:19], v14, s[10:11] offset:32 glc
	global_load_dwordx2 v[6:7], v14, s[10:11] offset:40
	v_mov_b32_e32 v16, s12
	v_mov_b32_e32 v17, s13
	s_waitcnt vmcnt(0)
	v_readfirstlane_b32 s16, v6
	v_readfirstlane_b32 s17, v7
	s_and_b64 s[16:17], s[16:17], s[12:13]
	s_mul_i32 s17, s17, 24
	s_mul_hi_u32 s18, s16, 24
	s_mul_i32 s16, s16, 24
	s_add_i32 s17, s18, s17
	v_mov_b32_e32 v6, s17
	v_add_co_u32_e32 v10, vcc, s16, v10
	v_addc_co_u32_e32 v11, vcc, v11, v6, vcc
	global_store_dwordx2 v[10:11], v[18:19], off
	buffer_wbl2
	s_waitcnt vmcnt(0)
	global_atomic_cmpswap_x2 v[8:9], v14, v[16:19], s[10:11] offset:32 glc
	s_waitcnt vmcnt(0)
	v_cmp_ne_u64_e32 vcc, v[8:9], v[18:19]
	s_and_saveexec_b64 s[16:17], vcc
	s_cbranch_execz .LBB6_2445
; %bb.2443:
	s_mov_b64 s[18:19], 0
.LBB6_2444:                             ; =>This Inner Loop Header: Depth=1
	s_sleep 1
	global_store_dwordx2 v[10:11], v[8:9], off
	v_mov_b32_e32 v6, s12
	v_mov_b32_e32 v7, s13
	buffer_wbl2
	s_waitcnt vmcnt(0)
	global_atomic_cmpswap_x2 v[6:7], v14, v[6:9], s[10:11] offset:32 glc
	s_waitcnt vmcnt(0)
	v_cmp_eq_u64_e32 vcc, v[6:7], v[8:9]
	s_or_b64 s[18:19], vcc, s[18:19]
	v_pk_mov_b32 v[8:9], v[6:7], v[6:7] op_sel:[0,1]
	s_andn2_b64 exec, exec, s[18:19]
	s_cbranch_execnz .LBB6_2444
.LBB6_2445:
	s_or_b64 exec, exec, s[16:17]
	v_mov_b32_e32 v9, 0
	global_load_dwordx2 v[6:7], v9, s[10:11] offset:16
	s_mov_b64 s[16:17], exec
	v_mbcnt_lo_u32_b32 v8, s16, 0
	v_mbcnt_hi_u32_b32 v8, s17, v8
	v_cmp_eq_u32_e32 vcc, 0, v8
	s_and_saveexec_b64 s[18:19], vcc
	s_cbranch_execz .LBB6_2447
; %bb.2446:
	s_bcnt1_i32_b64 s16, s[16:17]
	v_mov_b32_e32 v8, s16
	buffer_wbl2
	s_waitcnt vmcnt(0)
	global_atomic_add_x2 v[6:7], v[8:9], off offset:8
.LBB6_2447:
	s_or_b64 exec, exec, s[18:19]
	s_waitcnt vmcnt(0)
	global_load_dwordx2 v[8:9], v[6:7], off offset:16
	s_waitcnt vmcnt(0)
	v_cmp_eq_u64_e32 vcc, 0, v[8:9]
	s_cbranch_vccnz .LBB6_2449
; %bb.2448:
	global_load_dword v6, v[6:7], off offset:24
	v_mov_b32_e32 v7, 0
	buffer_wbl2
	s_waitcnt vmcnt(0)
	global_store_dwordx2 v[8:9], v[6:7], off
	v_and_b32_e32 v6, 0xffffff, v6
	v_readfirstlane_b32 m0, v6
	s_sendmsg sendmsg(MSG_INTERRUPT)
.LBB6_2449:
	s_or_b64 exec, exec, s[14:15]
	s_branch .LBB6_2451
.LBB6_2450:
	s_branch .LBB6_2455
.LBB6_2451:                             ; =>This Inner Loop Header: Depth=1
	v_mov_b32_e32 v6, 1
	s_and_saveexec_b64 s[14:15], s[6:7]
	s_cbranch_execz .LBB6_2453
; %bb.2452:                             ;   in Loop: Header=BB6_2451 Depth=1
	global_load_dword v6, v[2:3], off offset:20 glc
	s_waitcnt vmcnt(0)
	buffer_invl2
	buffer_wbinvl1_vol
	v_and_b32_e32 v6, 1, v6
.LBB6_2453:                             ;   in Loop: Header=BB6_2451 Depth=1
	s_or_b64 exec, exec, s[14:15]
	v_readfirstlane_b32 s14, v6
	s_cmp_eq_u32 s14, 0
	s_cbranch_scc1 .LBB6_2450
; %bb.2454:                             ;   in Loop: Header=BB6_2451 Depth=1
	s_sleep 1
	s_cbranch_execnz .LBB6_2451
.LBB6_2455:
	global_load_dwordx2 v[8:9], v[12:13], off
	s_and_saveexec_b64 s[14:15], s[6:7]
	s_cbranch_execz .LBB6_2458
; %bb.2456:
	v_mov_b32_e32 v6, 0
	global_load_dwordx2 v[2:3], v6, s[10:11] offset:40
	global_load_dwordx2 v[14:15], v6, s[10:11] offset:24 glc
	global_load_dwordx2 v[16:17], v6, s[10:11]
	v_mov_b32_e32 v7, s13
	s_mov_b64 s[6:7], 0
	s_waitcnt vmcnt(2)
	v_add_co_u32_e32 v13, vcc, 1, v2
	v_addc_co_u32_e32 v18, vcc, 0, v3, vcc
	v_add_co_u32_e32 v10, vcc, s12, v13
	v_addc_co_u32_e32 v11, vcc, v18, v7, vcc
	v_cmp_eq_u64_e32 vcc, 0, v[10:11]
	v_cndmask_b32_e32 v11, v11, v18, vcc
	v_cndmask_b32_e32 v10, v10, v13, vcc
	v_and_b32_e32 v3, v11, v3
	v_and_b32_e32 v2, v10, v2
	v_mul_lo_u32 v3, v3, 24
	v_mul_hi_u32 v7, v2, 24
	v_mul_lo_u32 v2, v2, 24
	v_add_u32_e32 v3, v7, v3
	s_waitcnt vmcnt(0)
	v_add_co_u32_e32 v2, vcc, v16, v2
	v_addc_co_u32_e32 v3, vcc, v17, v3, vcc
	v_mov_b32_e32 v12, v14
	global_store_dwordx2 v[2:3], v[14:15], off
	v_mov_b32_e32 v13, v15
	buffer_wbl2
	s_waitcnt vmcnt(0)
	global_atomic_cmpswap_x2 v[12:13], v6, v[10:13], s[10:11] offset:24 glc
	s_waitcnt vmcnt(0)
	v_cmp_ne_u64_e32 vcc, v[12:13], v[14:15]
	s_and_b64 exec, exec, vcc
	s_cbranch_execz .LBB6_2458
.LBB6_2457:                             ; =>This Inner Loop Header: Depth=1
	s_sleep 1
	global_store_dwordx2 v[2:3], v[12:13], off
	buffer_wbl2
	s_waitcnt vmcnt(0)
	global_atomic_cmpswap_x2 v[14:15], v6, v[10:13], s[10:11] offset:24 glc
	s_waitcnt vmcnt(0)
	v_cmp_eq_u64_e32 vcc, v[14:15], v[12:13]
	s_or_b64 s[6:7], vcc, s[6:7]
	v_pk_mov_b32 v[12:13], v[14:15], v[14:15] op_sel:[0,1]
	s_andn2_b64 exec, exec, s[6:7]
	s_cbranch_execnz .LBB6_2457
.LBB6_2458:
	s_or_b64 exec, exec, s[14:15]
.LBB6_2459:
	v_readfirstlane_b32 s6, v5
	v_cmp_eq_u32_e64 s[6:7], s6, v5
	v_pk_mov_b32 v[2:3], 0, 0
	s_and_saveexec_b64 s[12:13], s[6:7]
	s_cbranch_execz .LBB6_2465
; %bb.2460:
	s_waitcnt vmcnt(0)
	v_mov_b32_e32 v6, 0
	global_load_dwordx2 v[12:13], v6, s[10:11] offset:24 glc
	s_waitcnt vmcnt(0)
	buffer_invl2
	buffer_wbinvl1_vol
	global_load_dwordx2 v[2:3], v6, s[10:11] offset:40
	global_load_dwordx2 v[10:11], v6, s[10:11]
	s_waitcnt vmcnt(1)
	v_and_b32_e32 v2, v2, v12
	v_and_b32_e32 v3, v3, v13
	v_mul_lo_u32 v3, v3, 24
	v_mul_hi_u32 v7, v2, 24
	v_mul_lo_u32 v2, v2, 24
	v_add_u32_e32 v3, v7, v3
	s_waitcnt vmcnt(0)
	v_add_co_u32_e32 v2, vcc, v10, v2
	v_addc_co_u32_e32 v3, vcc, v11, v3, vcc
	global_load_dwordx2 v[10:11], v[2:3], off glc
	s_waitcnt vmcnt(0)
	global_atomic_cmpswap_x2 v[2:3], v6, v[10:13], s[10:11] offset:24 glc
	s_waitcnt vmcnt(0)
	buffer_invl2
	buffer_wbinvl1_vol
	v_cmp_ne_u64_e32 vcc, v[2:3], v[12:13]
	s_and_saveexec_b64 s[14:15], vcc
	s_cbranch_execz .LBB6_2464
; %bb.2461:
	s_mov_b64 s[16:17], 0
.LBB6_2462:                             ; =>This Inner Loop Header: Depth=1
	s_sleep 1
	global_load_dwordx2 v[10:11], v6, s[10:11] offset:40
	global_load_dwordx2 v[14:15], v6, s[10:11]
	v_pk_mov_b32 v[12:13], v[2:3], v[2:3] op_sel:[0,1]
	s_waitcnt vmcnt(1)
	v_and_b32_e32 v2, v10, v12
	s_waitcnt vmcnt(0)
	v_mad_u64_u32 v[2:3], s[18:19], v2, 24, v[14:15]
	v_and_b32_e32 v7, v11, v13
	v_mov_b32_e32 v10, v3
	v_mad_u64_u32 v[10:11], s[18:19], v7, 24, v[10:11]
	v_mov_b32_e32 v3, v10
	global_load_dwordx2 v[10:11], v[2:3], off glc
	s_waitcnt vmcnt(0)
	global_atomic_cmpswap_x2 v[2:3], v6, v[10:13], s[10:11] offset:24 glc
	s_waitcnt vmcnt(0)
	buffer_invl2
	buffer_wbinvl1_vol
	v_cmp_eq_u64_e32 vcc, v[2:3], v[12:13]
	s_or_b64 s[16:17], vcc, s[16:17]
	s_andn2_b64 exec, exec, s[16:17]
	s_cbranch_execnz .LBB6_2462
; %bb.2463:
	s_or_b64 exec, exec, s[16:17]
.LBB6_2464:
	s_or_b64 exec, exec, s[14:15]
.LBB6_2465:
	s_or_b64 exec, exec, s[12:13]
	s_waitcnt vmcnt(0)
	v_mov_b32_e32 v11, 0
	global_load_dwordx2 v[6:7], v11, s[10:11] offset:40
	global_load_dwordx4 v[12:15], v11, s[10:11]
	v_readfirstlane_b32 s12, v2
	v_readfirstlane_b32 s13, v3
	s_mov_b64 s[14:15], exec
	s_waitcnt vmcnt(1)
	v_readfirstlane_b32 s16, v6
	v_readfirstlane_b32 s17, v7
	s_and_b64 s[16:17], s[12:13], s[16:17]
	s_mul_i32 s18, s17, 24
	s_mul_hi_u32 s19, s16, 24
	s_mul_i32 s20, s16, 24
	s_add_i32 s18, s19, s18
	v_mov_b32_e32 v3, s18
	s_waitcnt vmcnt(0)
	v_add_co_u32_e32 v2, vcc, s20, v12
	v_addc_co_u32_e32 v3, vcc, v13, v3, vcc
	s_and_saveexec_b64 s[18:19], s[6:7]
	s_cbranch_execz .LBB6_2467
; %bb.2466:
	v_pk_mov_b32 v[16:17], s[14:15], s[14:15] op_sel:[0,1]
	v_mov_b32_e32 v18, 2
	v_mov_b32_e32 v19, 1
	global_store_dwordx4 v[2:3], v[16:19], off offset:8
.LBB6_2467:
	s_or_b64 exec, exec, s[18:19]
	s_lshl_b64 s[14:15], s[16:17], 12
	v_mov_b32_e32 v7, s15
	v_add_co_u32_e32 v6, vcc, s14, v14
	v_addc_co_u32_e32 v7, vcc, v15, v7, vcc
	s_mov_b32 s16, 0
	s_movk_i32 s14, 0xff1f
	v_and_or_b32 v8, v8, s14, 32
	v_add_co_u32_e32 v14, vcc, v6, v39
	v_mov_b32_e32 v10, v48
	v_readfirstlane_b32 s14, v6
	v_readfirstlane_b32 s15, v7
	s_mov_b32 s17, s16
	v_addc_co_u32_e32 v15, vcc, 0, v7, vcc
	s_mov_b32 s18, s16
	s_mov_b32 s19, s16
	s_nop 0
	global_store_dwordx4 v39, v[8:11], s[14:15]
	v_pk_mov_b32 v[6:7], s[16:17], s[16:17] op_sel:[0,1]
	v_pk_mov_b32 v[8:9], s[18:19], s[18:19] op_sel:[0,1]
	global_store_dwordx4 v39, v[6:9], s[14:15] offset:16
	global_store_dwordx4 v39, v[6:9], s[14:15] offset:32
	;; [unrolled: 1-line block ×3, first 2 shown]
	s_and_saveexec_b64 s[14:15], s[6:7]
	s_cbranch_execz .LBB6_2475
; %bb.2468:
	v_mov_b32_e32 v16, 0
	global_load_dwordx2 v[20:21], v16, s[10:11] offset:32 glc
	global_load_dwordx2 v[6:7], v16, s[10:11] offset:40
	v_mov_b32_e32 v18, s12
	v_mov_b32_e32 v19, s13
	s_waitcnt vmcnt(0)
	v_readfirstlane_b32 s16, v6
	v_readfirstlane_b32 s17, v7
	s_and_b64 s[16:17], s[16:17], s[12:13]
	s_mul_i32 s17, s17, 24
	s_mul_hi_u32 s18, s16, 24
	s_mul_i32 s16, s16, 24
	s_add_i32 s17, s18, s17
	v_mov_b32_e32 v6, s17
	v_add_co_u32_e32 v10, vcc, s16, v12
	v_addc_co_u32_e32 v11, vcc, v13, v6, vcc
	global_store_dwordx2 v[10:11], v[20:21], off
	buffer_wbl2
	s_waitcnt vmcnt(0)
	global_atomic_cmpswap_x2 v[8:9], v16, v[18:21], s[10:11] offset:32 glc
	s_waitcnt vmcnt(0)
	v_cmp_ne_u64_e32 vcc, v[8:9], v[20:21]
	s_and_saveexec_b64 s[16:17], vcc
	s_cbranch_execz .LBB6_2471
; %bb.2469:
	s_mov_b64 s[18:19], 0
.LBB6_2470:                             ; =>This Inner Loop Header: Depth=1
	s_sleep 1
	global_store_dwordx2 v[10:11], v[8:9], off
	v_mov_b32_e32 v6, s12
	v_mov_b32_e32 v7, s13
	buffer_wbl2
	s_waitcnt vmcnt(0)
	global_atomic_cmpswap_x2 v[6:7], v16, v[6:9], s[10:11] offset:32 glc
	s_waitcnt vmcnt(0)
	v_cmp_eq_u64_e32 vcc, v[6:7], v[8:9]
	s_or_b64 s[18:19], vcc, s[18:19]
	v_pk_mov_b32 v[8:9], v[6:7], v[6:7] op_sel:[0,1]
	s_andn2_b64 exec, exec, s[18:19]
	s_cbranch_execnz .LBB6_2470
.LBB6_2471:
	s_or_b64 exec, exec, s[16:17]
	v_mov_b32_e32 v9, 0
	global_load_dwordx2 v[6:7], v9, s[10:11] offset:16
	s_mov_b64 s[16:17], exec
	v_mbcnt_lo_u32_b32 v8, s16, 0
	v_mbcnt_hi_u32_b32 v8, s17, v8
	v_cmp_eq_u32_e32 vcc, 0, v8
	s_and_saveexec_b64 s[18:19], vcc
	s_cbranch_execz .LBB6_2473
; %bb.2472:
	s_bcnt1_i32_b64 s16, s[16:17]
	v_mov_b32_e32 v8, s16
	buffer_wbl2
	s_waitcnt vmcnt(0)
	global_atomic_add_x2 v[6:7], v[8:9], off offset:8
.LBB6_2473:
	s_or_b64 exec, exec, s[18:19]
	s_waitcnt vmcnt(0)
	global_load_dwordx2 v[8:9], v[6:7], off offset:16
	s_waitcnt vmcnt(0)
	v_cmp_eq_u64_e32 vcc, 0, v[8:9]
	s_cbranch_vccnz .LBB6_2475
; %bb.2474:
	global_load_dword v6, v[6:7], off offset:24
	v_mov_b32_e32 v7, 0
	buffer_wbl2
	s_waitcnt vmcnt(0)
	global_store_dwordx2 v[8:9], v[6:7], off
	v_and_b32_e32 v6, 0xffffff, v6
	v_readfirstlane_b32 m0, v6
	s_sendmsg sendmsg(MSG_INTERRUPT)
.LBB6_2475:
	s_or_b64 exec, exec, s[14:15]
	s_branch .LBB6_2477
.LBB6_2476:
	s_branch .LBB6_2481
.LBB6_2477:                             ; =>This Inner Loop Header: Depth=1
	v_mov_b32_e32 v6, 1
	s_and_saveexec_b64 s[14:15], s[6:7]
	s_cbranch_execz .LBB6_2479
; %bb.2478:                             ;   in Loop: Header=BB6_2477 Depth=1
	global_load_dword v6, v[2:3], off offset:20 glc
	s_waitcnt vmcnt(0)
	buffer_invl2
	buffer_wbinvl1_vol
	v_and_b32_e32 v6, 1, v6
.LBB6_2479:                             ;   in Loop: Header=BB6_2477 Depth=1
	s_or_b64 exec, exec, s[14:15]
	v_readfirstlane_b32 s14, v6
	s_cmp_eq_u32 s14, 0
	s_cbranch_scc1 .LBB6_2476
; %bb.2480:                             ;   in Loop: Header=BB6_2477 Depth=1
	s_sleep 1
	s_cbranch_execnz .LBB6_2477
.LBB6_2481:
	global_load_dwordx2 v[2:3], v[14:15], off
	s_and_saveexec_b64 s[14:15], s[6:7]
	s_cbranch_execz .LBB6_2484
; %bb.2482:
	v_mov_b32_e32 v12, 0
	global_load_dwordx2 v[10:11], v12, s[10:11] offset:40
	global_load_dwordx2 v[14:15], v12, s[10:11] offset:24 glc
	global_load_dwordx2 v[16:17], v12, s[10:11]
	v_mov_b32_e32 v7, s13
	s_mov_b64 s[6:7], 0
	s_waitcnt vmcnt(2)
	v_add_co_u32_e32 v9, vcc, 1, v10
	v_addc_co_u32_e32 v13, vcc, 0, v11, vcc
	v_add_co_u32_e32 v6, vcc, s12, v9
	v_addc_co_u32_e32 v7, vcc, v13, v7, vcc
	v_cmp_eq_u64_e32 vcc, 0, v[6:7]
	v_cndmask_b32_e32 v7, v7, v13, vcc
	v_cndmask_b32_e32 v6, v6, v9, vcc
	v_and_b32_e32 v9, v7, v11
	v_and_b32_e32 v10, v6, v10
	v_mul_lo_u32 v9, v9, 24
	v_mul_hi_u32 v11, v10, 24
	v_mul_lo_u32 v10, v10, 24
	v_add_u32_e32 v9, v11, v9
	s_waitcnt vmcnt(0)
	v_add_co_u32_e32 v10, vcc, v16, v10
	v_addc_co_u32_e32 v11, vcc, v17, v9, vcc
	v_mov_b32_e32 v8, v14
	global_store_dwordx2 v[10:11], v[14:15], off
	v_mov_b32_e32 v9, v15
	buffer_wbl2
	s_waitcnt vmcnt(0)
	global_atomic_cmpswap_x2 v[8:9], v12, v[6:9], s[10:11] offset:24 glc
	s_waitcnt vmcnt(0)
	v_cmp_ne_u64_e32 vcc, v[8:9], v[14:15]
	s_and_b64 exec, exec, vcc
	s_cbranch_execz .LBB6_2484
.LBB6_2483:                             ; =>This Inner Loop Header: Depth=1
	s_sleep 1
	global_store_dwordx2 v[10:11], v[8:9], off
	buffer_wbl2
	s_waitcnt vmcnt(0)
	global_atomic_cmpswap_x2 v[14:15], v12, v[6:9], s[10:11] offset:24 glc
	s_waitcnt vmcnt(0)
	v_cmp_eq_u64_e32 vcc, v[14:15], v[8:9]
	s_or_b64 s[6:7], vcc, s[6:7]
	v_pk_mov_b32 v[8:9], v[14:15], v[14:15] op_sel:[0,1]
	s_andn2_b64 exec, exec, s[6:7]
	s_cbranch_execnz .LBB6_2483
.LBB6_2484:
	s_or_b64 exec, exec, s[14:15]
	v_readfirstlane_b32 s6, v5
	v_cmp_eq_u32_e64 s[6:7], s6, v5
	v_pk_mov_b32 v[10:11], 0, 0
	s_and_saveexec_b64 s[12:13], s[6:7]
	s_cbranch_execz .LBB6_2490
; %bb.2485:
	v_mov_b32_e32 v5, 0
	global_load_dwordx2 v[8:9], v5, s[10:11] offset:24 glc
	s_waitcnt vmcnt(0)
	buffer_invl2
	buffer_wbinvl1_vol
	global_load_dwordx2 v[6:7], v5, s[10:11] offset:40
	global_load_dwordx2 v[10:11], v5, s[10:11]
	s_waitcnt vmcnt(1)
	v_and_b32_e32 v6, v6, v8
	v_and_b32_e32 v7, v7, v9
	v_mul_lo_u32 v7, v7, 24
	v_mul_hi_u32 v12, v6, 24
	v_mul_lo_u32 v6, v6, 24
	v_add_u32_e32 v7, v12, v7
	s_waitcnt vmcnt(0)
	v_add_co_u32_e32 v6, vcc, v10, v6
	v_addc_co_u32_e32 v7, vcc, v11, v7, vcc
	global_load_dwordx2 v[6:7], v[6:7], off glc
	s_waitcnt vmcnt(0)
	global_atomic_cmpswap_x2 v[10:11], v5, v[6:9], s[10:11] offset:24 glc
	s_waitcnt vmcnt(0)
	buffer_invl2
	buffer_wbinvl1_vol
	v_cmp_ne_u64_e32 vcc, v[10:11], v[8:9]
	s_and_saveexec_b64 s[14:15], vcc
	s_cbranch_execz .LBB6_2489
; %bb.2486:
	s_mov_b64 s[16:17], 0
.LBB6_2487:                             ; =>This Inner Loop Header: Depth=1
	s_sleep 1
	global_load_dwordx2 v[6:7], v5, s[10:11] offset:40
	global_load_dwordx2 v[12:13], v5, s[10:11]
	v_pk_mov_b32 v[8:9], v[10:11], v[10:11] op_sel:[0,1]
	s_waitcnt vmcnt(1)
	v_and_b32_e32 v6, v6, v8
	v_and_b32_e32 v11, v7, v9
	s_waitcnt vmcnt(0)
	v_mad_u64_u32 v[6:7], s[18:19], v6, 24, v[12:13]
	v_mov_b32_e32 v10, v7
	v_mad_u64_u32 v[10:11], s[18:19], v11, 24, v[10:11]
	v_mov_b32_e32 v7, v10
	global_load_dwordx2 v[6:7], v[6:7], off glc
	s_waitcnt vmcnt(0)
	global_atomic_cmpswap_x2 v[10:11], v5, v[6:9], s[10:11] offset:24 glc
	s_waitcnt vmcnt(0)
	buffer_invl2
	buffer_wbinvl1_vol
	v_cmp_eq_u64_e32 vcc, v[10:11], v[8:9]
	s_or_b64 s[16:17], vcc, s[16:17]
	s_andn2_b64 exec, exec, s[16:17]
	s_cbranch_execnz .LBB6_2487
; %bb.2488:
	s_or_b64 exec, exec, s[16:17]
.LBB6_2489:
	s_or_b64 exec, exec, s[14:15]
.LBB6_2490:
	s_or_b64 exec, exec, s[12:13]
	v_mov_b32_e32 v5, 0
	global_load_dwordx2 v[12:13], v5, s[10:11] offset:40
	global_load_dwordx4 v[6:9], v5, s[10:11]
	v_readfirstlane_b32 s12, v10
	v_readfirstlane_b32 s13, v11
	s_mov_b64 s[14:15], exec
	s_waitcnt vmcnt(1)
	v_readfirstlane_b32 s16, v12
	v_readfirstlane_b32 s17, v13
	s_and_b64 s[16:17], s[12:13], s[16:17]
	s_mul_i32 s18, s17, 24
	s_mul_hi_u32 s19, s16, 24
	s_mul_i32 s20, s16, 24
	s_add_i32 s18, s19, s18
	v_mov_b32_e32 v11, s18
	s_waitcnt vmcnt(0)
	v_add_co_u32_e32 v10, vcc, s20, v6
	v_addc_co_u32_e32 v11, vcc, v7, v11, vcc
	s_and_saveexec_b64 s[18:19], s[6:7]
	s_cbranch_execz .LBB6_2492
; %bb.2491:
	v_pk_mov_b32 v[12:13], s[14:15], s[14:15] op_sel:[0,1]
	v_mov_b32_e32 v14, 2
	v_mov_b32_e32 v15, 1
	global_store_dwordx4 v[10:11], v[12:15], off offset:8
.LBB6_2492:
	s_or_b64 exec, exec, s[18:19]
	s_lshl_b64 s[14:15], s[16:17], 12
	v_mov_b32_e32 v12, s15
	v_add_co_u32_e32 v8, vcc, s14, v8
	v_addc_co_u32_e32 v9, vcc, v9, v12, vcc
	s_movk_i32 s14, 0xff1d
	s_mov_b32 s16, 0
	v_and_or_b32 v2, v2, s14, 34
	v_readfirstlane_b32 s14, v8
	v_readfirstlane_b32 s15, v9
	s_mov_b32 s17, s16
	s_mov_b32 s18, s16
	;; [unrolled: 1-line block ×3, first 2 shown]
	s_nop 1
	global_store_dwordx4 v39, v[2:5], s[14:15]
	s_nop 0
	v_pk_mov_b32 v[2:3], s[16:17], s[16:17] op_sel:[0,1]
	v_pk_mov_b32 v[4:5], s[18:19], s[18:19] op_sel:[0,1]
	global_store_dwordx4 v39, v[2:5], s[14:15] offset:16
	global_store_dwordx4 v39, v[2:5], s[14:15] offset:32
	;; [unrolled: 1-line block ×3, first 2 shown]
	s_and_saveexec_b64 s[14:15], s[6:7]
	s_cbranch_execz .LBB6_2500
; %bb.2493:
	v_mov_b32_e32 v8, 0
	global_load_dwordx2 v[14:15], v8, s[10:11] offset:32 glc
	global_load_dwordx2 v[2:3], v8, s[10:11] offset:40
	v_mov_b32_e32 v12, s12
	v_mov_b32_e32 v13, s13
	s_waitcnt vmcnt(0)
	v_readfirstlane_b32 s16, v2
	v_readfirstlane_b32 s17, v3
	s_and_b64 s[16:17], s[16:17], s[12:13]
	s_mul_i32 s17, s17, 24
	s_mul_hi_u32 s18, s16, 24
	s_mul_i32 s16, s16, 24
	s_add_i32 s17, s18, s17
	v_mov_b32_e32 v2, s17
	v_add_co_u32_e32 v6, vcc, s16, v6
	v_addc_co_u32_e32 v7, vcc, v7, v2, vcc
	global_store_dwordx2 v[6:7], v[14:15], off
	buffer_wbl2
	s_waitcnt vmcnt(0)
	global_atomic_cmpswap_x2 v[4:5], v8, v[12:15], s[10:11] offset:32 glc
	s_waitcnt vmcnt(0)
	v_cmp_ne_u64_e32 vcc, v[4:5], v[14:15]
	s_and_saveexec_b64 s[16:17], vcc
	s_cbranch_execz .LBB6_2496
; %bb.2494:
	s_mov_b64 s[18:19], 0
.LBB6_2495:                             ; =>This Inner Loop Header: Depth=1
	s_sleep 1
	global_store_dwordx2 v[6:7], v[4:5], off
	v_mov_b32_e32 v2, s12
	v_mov_b32_e32 v3, s13
	buffer_wbl2
	s_waitcnt vmcnt(0)
	global_atomic_cmpswap_x2 v[2:3], v8, v[2:5], s[10:11] offset:32 glc
	s_waitcnt vmcnt(0)
	v_cmp_eq_u64_e32 vcc, v[2:3], v[4:5]
	s_or_b64 s[18:19], vcc, s[18:19]
	v_pk_mov_b32 v[4:5], v[2:3], v[2:3] op_sel:[0,1]
	s_andn2_b64 exec, exec, s[18:19]
	s_cbranch_execnz .LBB6_2495
.LBB6_2496:
	s_or_b64 exec, exec, s[16:17]
	v_mov_b32_e32 v5, 0
	global_load_dwordx2 v[2:3], v5, s[10:11] offset:16
	s_mov_b64 s[16:17], exec
	v_mbcnt_lo_u32_b32 v4, s16, 0
	v_mbcnt_hi_u32_b32 v4, s17, v4
	v_cmp_eq_u32_e32 vcc, 0, v4
	s_and_saveexec_b64 s[18:19], vcc
	s_cbranch_execz .LBB6_2498
; %bb.2497:
	s_bcnt1_i32_b64 s16, s[16:17]
	v_mov_b32_e32 v4, s16
	buffer_wbl2
	s_waitcnt vmcnt(0)
	global_atomic_add_x2 v[2:3], v[4:5], off offset:8
.LBB6_2498:
	s_or_b64 exec, exec, s[18:19]
	s_waitcnt vmcnt(0)
	global_load_dwordx2 v[4:5], v[2:3], off offset:16
	s_waitcnt vmcnt(0)
	v_cmp_eq_u64_e32 vcc, 0, v[4:5]
	s_cbranch_vccnz .LBB6_2500
; %bb.2499:
	global_load_dword v2, v[2:3], off offset:24
	v_mov_b32_e32 v3, 0
	buffer_wbl2
	s_waitcnt vmcnt(0)
	global_store_dwordx2 v[4:5], v[2:3], off
	v_and_b32_e32 v2, 0xffffff, v2
	v_readfirstlane_b32 m0, v2
	s_sendmsg sendmsg(MSG_INTERRUPT)
.LBB6_2500:
	s_or_b64 exec, exec, s[14:15]
	s_branch .LBB6_2502
.LBB6_2501:
	s_branch .LBB6_2506
.LBB6_2502:                             ; =>This Inner Loop Header: Depth=1
	v_mov_b32_e32 v2, 1
	s_and_saveexec_b64 s[14:15], s[6:7]
	s_cbranch_execz .LBB6_2504
; %bb.2503:                             ;   in Loop: Header=BB6_2502 Depth=1
	global_load_dword v2, v[10:11], off offset:20 glc
	s_waitcnt vmcnt(0)
	buffer_invl2
	buffer_wbinvl1_vol
	v_and_b32_e32 v2, 1, v2
.LBB6_2504:                             ;   in Loop: Header=BB6_2502 Depth=1
	s_or_b64 exec, exec, s[14:15]
	v_readfirstlane_b32 s14, v2
	s_cmp_eq_u32 s14, 0
	s_cbranch_scc1 .LBB6_2501
; %bb.2505:                             ;   in Loop: Header=BB6_2502 Depth=1
	s_sleep 1
	s_cbranch_execnz .LBB6_2502
.LBB6_2506:
	s_and_b64 exec, exec, s[6:7]
	s_cbranch_execz .LBB6_2509
; %bb.2507:
	v_mov_b32_e32 v8, 0
	global_load_dwordx2 v[6:7], v8, s[10:11] offset:40
	global_load_dwordx2 v[10:11], v8, s[10:11] offset:24 glc
	global_load_dwordx2 v[12:13], v8, s[10:11]
	v_mov_b32_e32 v3, s13
	s_mov_b64 s[6:7], 0
	s_waitcnt vmcnt(2)
	v_add_co_u32_e32 v5, vcc, 1, v6
	v_addc_co_u32_e32 v9, vcc, 0, v7, vcc
	v_add_co_u32_e32 v2, vcc, s12, v5
	v_addc_co_u32_e32 v3, vcc, v9, v3, vcc
	v_cmp_eq_u64_e32 vcc, 0, v[2:3]
	v_cndmask_b32_e32 v3, v3, v9, vcc
	v_cndmask_b32_e32 v2, v2, v5, vcc
	v_and_b32_e32 v5, v3, v7
	v_and_b32_e32 v6, v2, v6
	v_mul_lo_u32 v5, v5, 24
	v_mul_hi_u32 v7, v6, 24
	v_mul_lo_u32 v6, v6, 24
	v_add_u32_e32 v5, v7, v5
	s_waitcnt vmcnt(0)
	v_add_co_u32_e32 v6, vcc, v12, v6
	v_addc_co_u32_e32 v7, vcc, v13, v5, vcc
	v_mov_b32_e32 v4, v10
	global_store_dwordx2 v[6:7], v[10:11], off
	v_mov_b32_e32 v5, v11
	buffer_wbl2
	s_waitcnt vmcnt(0)
	global_atomic_cmpswap_x2 v[4:5], v8, v[2:5], s[10:11] offset:24 glc
	s_waitcnt vmcnt(0)
	v_cmp_ne_u64_e32 vcc, v[4:5], v[10:11]
	s_and_b64 exec, exec, vcc
	s_cbranch_execz .LBB6_2509
.LBB6_2508:                             ; =>This Inner Loop Header: Depth=1
	s_sleep 1
	global_store_dwordx2 v[6:7], v[4:5], off
	buffer_wbl2
	s_waitcnt vmcnt(0)
	global_atomic_cmpswap_x2 v[10:11], v8, v[2:5], s[10:11] offset:24 glc
	s_waitcnt vmcnt(0)
	v_cmp_eq_u64_e32 vcc, v[10:11], v[4:5]
	s_or_b64 s[6:7], vcc, s[6:7]
	v_pk_mov_b32 v[4:5], v[10:11], v[10:11] op_sel:[0,1]
	s_andn2_b64 exec, exec, s[6:7]
	s_cbranch_execnz .LBB6_2508
.LBB6_2509:
	s_or_b64 exec, exec, s[8:9]
	v_or_b32_e32 v0, v0, v40
	v_cmp_lt_i32_e32 vcc, -1, v0
	s_xor_b64 s[4:5], s[4:5], -1
	s_and_b64 s[4:5], vcc, s[4:5]
	s_mov_b64 s[42:43], 0
                                        ; implicit-def: $vgpr40
	s_and_saveexec_b64 s[6:7], s[4:5]
	s_xor_b64 s[4:5], exec, s[6:7]
	s_cbranch_execz .LBB6_2511
; %bb.2510:
	flat_load_dword v2, v[60:61]
	v_lshl_or_b32 v0, v38, 1, 1
	s_mov_b64 s[42:43], exec
	s_waitcnt vmcnt(0) lgkmcnt(0)
	v_ashrrev_i32_e32 v3, 31, v2
	v_add_u32_e32 v4, 1, v2
	flat_store_dword v[60:61], v4
	v_lshlrev_b64 v[4:5], 3, v[2:3]
	v_add_co_u32_e32 v4, vcc, v60, v4
	v_addc_co_u32_e32 v5, vcc, v61, v5, vcc
	flat_store_dwordx2 v[4:5], v[0:1] offset:8
	v_lshl_or_b32 v40, v2, 1, 1
.LBB6_2511:
	s_or_saveexec_b64 s[44:45], s[4:5]
	s_mov_b64 s[4:5], s[26:27]
	s_xor_b64 exec, exec, s[44:45]
	s_cbranch_execz .LBB6_2513
; %bb.2512:
	s_getpc_b64 s[4:5]
	s_add_u32 s4, s4, .str.46@rel32@lo+4
	s_addc_u32 s5, s5, .str.46@rel32@hi+12
	s_getpc_b64 s[6:7]
	s_add_u32 s6, s6, .str.44@rel32@lo+4
	s_addc_u32 s7, s7, .str.44@rel32@hi+12
	s_getpc_b64 s[10:11]
	s_add_u32 s10, s10, __PRETTY_FUNCTION__._ZN8subgUtil18formAndNodeKeyFlagEiii@rel32@lo+4
	s_addc_u32 s11, s11, __PRETTY_FUNCTION__._ZN8subgUtil18formAndNodeKeyFlagEiii@rel32@hi+12
	s_mov_b64 s[8:9], s[48:49]
	v_mov_b32_e32 v0, s4
	v_mov_b32_e32 v1, s5
	;; [unrolled: 1-line block ×7, first 2 shown]
	s_getpc_b64 s[12:13]
	s_add_u32 s12, s12, __assert_fail@rel32@lo+4
	s_addc_u32 s13, s13, __assert_fail@rel32@hi+12
	s_swappc_b64 s[30:31], s[12:13]
	s_or_b64 s[4:5], s[26:27], exec
                                        ; implicit-def: $vgpr40
.LBB6_2513:
	s_or_b64 exec, exec, s[44:45]
	s_andn2_b64 s[6:7], s[26:27], exec
	s_and_b64 s[4:5], s[4:5], exec
	s_or_b64 s[26:27], s[6:7], s[4:5]
	s_and_b64 s[6:7], s[42:43], exec
.LBB6_2514:
	s_or_b64 exec, exec, s[28:29]
	s_andn2_b64 s[4:5], s[34:35], exec
	s_and_b64 s[8:9], s[26:27], exec
	s_or_b64 s[4:5], s[4:5], s[8:9]
	s_orn2_b64 s[6:7], s[6:7], exec
.LBB6_2515:
	s_or_b64 exec, exec, s[40:41]
	s_mov_b64 s[8:9], 0
	s_and_saveexec_b64 s[10:11], s[6:7]
	s_xor_b64 s[6:7], exec, s[10:11]
; %bb.2516:
	s_mov_b64 s[8:9], exec
; %bb.2517:
	s_or_b64 exec, exec, s[6:7]
	s_andn2_b64 s[6:7], s[34:35], exec
	s_and_b64 s[4:5], s[4:5], exec
	s_or_b64 s[28:29], s[6:7], s[4:5]
	s_and_b64 s[26:27], s[8:9], exec
.LBB6_2518:
	s_andn2_saveexec_b64 s[38:39], s[38:39]
	s_cbranch_execz .LBB6_2520
; %bb.2519:
	s_getpc_b64 s[4:5]
	s_add_u32 s4, s4, .str.46@rel32@lo+4
	s_addc_u32 s5, s5, .str.46@rel32@hi+12
	s_getpc_b64 s[6:7]
	s_add_u32 s6, s6, .str.44@rel32@lo+4
	s_addc_u32 s7, s7, .str.44@rel32@hi+12
	s_getpc_b64 s[10:11]
	s_add_u32 s10, s10, __PRETTY_FUNCTION__._ZN8subgUtil18formAndNodeKeyFlagEiii@rel32@lo+4
	s_addc_u32 s11, s11, __PRETTY_FUNCTION__._ZN8subgUtil18formAndNodeKeyFlagEiii@rel32@hi+12
	s_mov_b64 s[8:9], s[48:49]
	v_mov_b32_e32 v0, s4
	v_mov_b32_e32 v1, s5
	;; [unrolled: 1-line block ×7, first 2 shown]
	s_getpc_b64 s[12:13]
	s_add_u32 s12, s12, __assert_fail@rel32@lo+4
	s_addc_u32 s13, s13, __assert_fail@rel32@hi+12
	s_swappc_b64 s[30:31], s[12:13]
	s_or_b64 s[28:29], s[28:29], exec
                                        ; implicit-def: $vgpr40
.LBB6_2520:
	s_or_b64 exec, exec, s[38:39]
	s_andn2_b64 s[4:5], s[34:35], exec
	s_and_b64 s[6:7], s[28:29], exec
	s_or_b64 s[34:35], s[4:5], s[6:7]
	s_and_b64 s[4:5], s[26:27], exec
.LBB6_2521:
	s_or_b64 exec, exec, s[36:37]
	s_andn2_b64 s[6:7], s[76:77], exec
	s_and_b64 s[8:9], s[34:35], exec
	s_or_b64 s[76:77], s[6:7], s[8:9]
	s_and_b64 s[6:7], s[4:5], exec
.LBB6_2522:
	s_or_b64 exec, exec, s[78:79]
	s_andn2_b64 s[4:5], s[72:73], exec
	s_and_b64 s[8:9], s[76:77], exec
	s_or_b64 s[72:73], s[4:5], s[8:9]
	s_and_b64 s[6:7], s[6:7], exec
.LBB6_2523:
	s_or_b64 exec, exec, s[74:75]
	v_readlane_b32 s4, v62, 42
	v_readlane_b32 s5, v62, 43
	s_andn2_b64 s[4:5], s[4:5], exec
	s_and_b64 s[8:9], s[72:73], exec
	s_or_b64 s[28:29], s[4:5], s[8:9]
	s_and_b64 s[26:27], s[6:7], exec
.LBB6_2524:
	s_andn2_saveexec_b64 s[34:35], s[70:71]
	s_cbranch_execz .LBB6_2671
; %bb.2525:
	s_load_dwordx2 s[6:7], s[48:49], 0x50
	v_mbcnt_lo_u32_b32 v0, -1, 0
	v_mbcnt_hi_u32_b32 v31, -1, v0
	v_readfirstlane_b32 s4, v31
	v_cmp_eq_u32_e64 s[4:5], s4, v31
	v_pk_mov_b32 v[6:7], 0, 0
	s_and_saveexec_b64 s[8:9], s[4:5]
	s_cbranch_execz .LBB6_2531
; %bb.2526:
	v_mov_b32_e32 v0, 0
	s_waitcnt lgkmcnt(0)
	global_load_dwordx2 v[4:5], v0, s[6:7] offset:24 glc
	s_waitcnt vmcnt(0)
	buffer_invl2
	buffer_wbinvl1_vol
	global_load_dwordx2 v[2:3], v0, s[6:7] offset:40
	global_load_dwordx2 v[6:7], v0, s[6:7]
	s_waitcnt vmcnt(1)
	v_and_b32_e32 v1, v2, v4
	v_and_b32_e32 v2, v3, v5
	v_mul_lo_u32 v2, v2, 24
	v_mul_hi_u32 v3, v1, 24
	v_mul_lo_u32 v1, v1, 24
	v_add_u32_e32 v3, v3, v2
	s_waitcnt vmcnt(0)
	v_add_co_u32_e32 v2, vcc, v6, v1
	v_addc_co_u32_e32 v3, vcc, v7, v3, vcc
	global_load_dwordx2 v[2:3], v[2:3], off glc
	s_waitcnt vmcnt(0)
	global_atomic_cmpswap_x2 v[6:7], v0, v[2:5], s[6:7] offset:24 glc
	s_waitcnt vmcnt(0)
	buffer_invl2
	buffer_wbinvl1_vol
	v_cmp_ne_u64_e32 vcc, v[6:7], v[4:5]
	s_and_saveexec_b64 s[10:11], vcc
	s_cbranch_execz .LBB6_2530
; %bb.2527:
	s_mov_b64 s[12:13], 0
.LBB6_2528:                             ; =>This Inner Loop Header: Depth=1
	s_sleep 1
	global_load_dwordx2 v[2:3], v0, s[6:7] offset:40
	global_load_dwordx2 v[8:9], v0, s[6:7]
	v_pk_mov_b32 v[4:5], v[6:7], v[6:7] op_sel:[0,1]
	s_waitcnt vmcnt(1)
	v_and_b32_e32 v2, v2, v4
	v_and_b32_e32 v1, v3, v5
	s_waitcnt vmcnt(0)
	v_mad_u64_u32 v[2:3], s[14:15], v2, 24, v[8:9]
	v_mov_b32_e32 v6, v3
	v_mad_u64_u32 v[6:7], s[14:15], v1, 24, v[6:7]
	v_mov_b32_e32 v3, v6
	global_load_dwordx2 v[2:3], v[2:3], off glc
	s_waitcnt vmcnt(0)
	global_atomic_cmpswap_x2 v[6:7], v0, v[2:5], s[6:7] offset:24 glc
	s_waitcnt vmcnt(0)
	buffer_invl2
	buffer_wbinvl1_vol
	v_cmp_eq_u64_e32 vcc, v[6:7], v[4:5]
	s_or_b64 s[12:13], vcc, s[12:13]
	s_andn2_b64 exec, exec, s[12:13]
	s_cbranch_execnz .LBB6_2528
; %bb.2529:
	s_or_b64 exec, exec, s[12:13]
.LBB6_2530:
	s_or_b64 exec, exec, s[10:11]
.LBB6_2531:
	s_or_b64 exec, exec, s[8:9]
	v_mov_b32_e32 v5, 0
	s_waitcnt lgkmcnt(0)
	global_load_dwordx2 v[8:9], v5, s[6:7] offset:40
	global_load_dwordx4 v[0:3], v5, s[6:7]
	v_readfirstlane_b32 s8, v6
	v_readfirstlane_b32 s9, v7
	s_mov_b64 s[10:11], exec
	s_waitcnt vmcnt(0)
	v_readfirstlane_b32 s12, v8
	v_readfirstlane_b32 s13, v9
	s_and_b64 s[12:13], s[8:9], s[12:13]
	s_mul_i32 s14, s13, 24
	s_mul_hi_u32 s15, s12, 24
	s_mul_i32 s16, s12, 24
	s_add_i32 s14, s15, s14
	v_mov_b32_e32 v4, s14
	v_add_co_u32_e32 v8, vcc, s16, v0
	v_addc_co_u32_e32 v9, vcc, v1, v4, vcc
	s_and_saveexec_b64 s[14:15], s[4:5]
	s_cbranch_execz .LBB6_2533
; %bb.2532:
	v_pk_mov_b32 v[10:11], s[10:11], s[10:11] op_sel:[0,1]
	v_mov_b32_e32 v12, 2
	v_mov_b32_e32 v13, 1
	global_store_dwordx4 v[8:9], v[10:13], off offset:8
.LBB6_2533:
	s_or_b64 exec, exec, s[14:15]
	s_lshl_b64 s[10:11], s[12:13], 12
	v_mov_b32_e32 v4, s11
	v_add_co_u32_e32 v2, vcc, s10, v2
	v_addc_co_u32_e32 v3, vcc, v3, v4, vcc
	s_mov_b32 s12, 0
	v_lshlrev_b32_e32 v30, 6, v31
	v_add_co_u32_e32 v10, vcc, v2, v30
	v_mov_b32_e32 v4, 33
	v_mov_b32_e32 v6, v5
	;; [unrolled: 1-line block ×3, first 2 shown]
	v_readfirstlane_b32 s10, v2
	v_readfirstlane_b32 s11, v3
	s_mov_b32 s13, s12
	v_addc_co_u32_e32 v11, vcc, 0, v3, vcc
	s_mov_b32 s14, s12
	s_mov_b32 s15, s12
	s_nop 0
	global_store_dwordx4 v30, v[4:7], s[10:11]
	v_pk_mov_b32 v[2:3], s[12:13], s[12:13] op_sel:[0,1]
	v_pk_mov_b32 v[4:5], s[14:15], s[14:15] op_sel:[0,1]
	global_store_dwordx4 v30, v[2:5], s[10:11] offset:16
	global_store_dwordx4 v30, v[2:5], s[10:11] offset:32
	;; [unrolled: 1-line block ×3, first 2 shown]
	s_and_saveexec_b64 s[10:11], s[4:5]
	s_cbranch_execz .LBB6_2541
; %bb.2534:
	v_mov_b32_e32 v6, 0
	global_load_dwordx2 v[14:15], v6, s[6:7] offset:32 glc
	global_load_dwordx2 v[2:3], v6, s[6:7] offset:40
	v_mov_b32_e32 v12, s8
	v_mov_b32_e32 v13, s9
	s_waitcnt vmcnt(0)
	v_and_b32_e32 v2, s8, v2
	v_and_b32_e32 v3, s9, v3
	v_mul_lo_u32 v3, v3, 24
	v_mul_hi_u32 v4, v2, 24
	v_mul_lo_u32 v2, v2, 24
	v_add_u32_e32 v3, v4, v3
	v_add_co_u32_e32 v4, vcc, v0, v2
	v_addc_co_u32_e32 v5, vcc, v1, v3, vcc
	global_store_dwordx2 v[4:5], v[14:15], off
	buffer_wbl2
	s_waitcnt vmcnt(0)
	global_atomic_cmpswap_x2 v[2:3], v6, v[12:15], s[6:7] offset:32 glc
	s_waitcnt vmcnt(0)
	v_cmp_ne_u64_e32 vcc, v[2:3], v[14:15]
	s_and_saveexec_b64 s[12:13], vcc
	s_cbranch_execz .LBB6_2537
; %bb.2535:
	s_mov_b64 s[14:15], 0
.LBB6_2536:                             ; =>This Inner Loop Header: Depth=1
	s_sleep 1
	global_store_dwordx2 v[4:5], v[2:3], off
	v_mov_b32_e32 v0, s8
	v_mov_b32_e32 v1, s9
	buffer_wbl2
	s_waitcnt vmcnt(0)
	global_atomic_cmpswap_x2 v[0:1], v6, v[0:3], s[6:7] offset:32 glc
	s_waitcnt vmcnt(0)
	v_cmp_eq_u64_e32 vcc, v[0:1], v[2:3]
	s_or_b64 s[14:15], vcc, s[14:15]
	v_pk_mov_b32 v[2:3], v[0:1], v[0:1] op_sel:[0,1]
	s_andn2_b64 exec, exec, s[14:15]
	s_cbranch_execnz .LBB6_2536
.LBB6_2537:
	s_or_b64 exec, exec, s[12:13]
	v_mov_b32_e32 v3, 0
	global_load_dwordx2 v[0:1], v3, s[6:7] offset:16
	s_mov_b64 s[12:13], exec
	v_mbcnt_lo_u32_b32 v2, s12, 0
	v_mbcnt_hi_u32_b32 v2, s13, v2
	v_cmp_eq_u32_e32 vcc, 0, v2
	s_and_saveexec_b64 s[14:15], vcc
	s_cbranch_execz .LBB6_2539
; %bb.2538:
	s_bcnt1_i32_b64 s12, s[12:13]
	v_mov_b32_e32 v2, s12
	buffer_wbl2
	s_waitcnt vmcnt(0)
	global_atomic_add_x2 v[0:1], v[2:3], off offset:8
.LBB6_2539:
	s_or_b64 exec, exec, s[14:15]
	s_waitcnt vmcnt(0)
	global_load_dwordx2 v[2:3], v[0:1], off offset:16
	s_waitcnt vmcnt(0)
	v_cmp_eq_u64_e32 vcc, 0, v[2:3]
	s_cbranch_vccnz .LBB6_2541
; %bb.2540:
	global_load_dword v0, v[0:1], off offset:24
	v_mov_b32_e32 v1, 0
	buffer_wbl2
	s_waitcnt vmcnt(0)
	global_store_dwordx2 v[2:3], v[0:1], off
	v_and_b32_e32 v0, 0xffffff, v0
	v_readfirstlane_b32 m0, v0
	s_sendmsg sendmsg(MSG_INTERRUPT)
.LBB6_2541:
	s_or_b64 exec, exec, s[10:11]
	s_branch .LBB6_2543
.LBB6_2542:
	s_branch .LBB6_2547
.LBB6_2543:                             ; =>This Inner Loop Header: Depth=1
	v_mov_b32_e32 v0, 1
	s_and_saveexec_b64 s[10:11], s[4:5]
	s_cbranch_execz .LBB6_2545
; %bb.2544:                             ;   in Loop: Header=BB6_2543 Depth=1
	global_load_dword v0, v[8:9], off offset:20 glc
	s_waitcnt vmcnt(0)
	buffer_invl2
	buffer_wbinvl1_vol
	v_and_b32_e32 v0, 1, v0
.LBB6_2545:                             ;   in Loop: Header=BB6_2543 Depth=1
	s_or_b64 exec, exec, s[10:11]
	v_readfirstlane_b32 s10, v0
	s_cmp_eq_u32 s10, 0
	s_cbranch_scc1 .LBB6_2542
; %bb.2546:                             ;   in Loop: Header=BB6_2543 Depth=1
	s_sleep 1
	s_cbranch_execnz .LBB6_2543
.LBB6_2547:
	global_load_dwordx2 v[0:1], v[10:11], off
	s_and_saveexec_b64 s[10:11], s[4:5]
	s_cbranch_execz .LBB6_2550
; %bb.2548:
	v_mov_b32_e32 v8, 0
	global_load_dwordx2 v[6:7], v8, s[6:7] offset:40
	global_load_dwordx2 v[10:11], v8, s[6:7] offset:24 glc
	global_load_dwordx2 v[12:13], v8, s[6:7]
	v_mov_b32_e32 v3, s9
	s_mov_b64 s[4:5], 0
	s_waitcnt vmcnt(2)
	v_add_co_u32_e32 v5, vcc, 1, v6
	v_addc_co_u32_e32 v9, vcc, 0, v7, vcc
	v_add_co_u32_e32 v2, vcc, s8, v5
	v_addc_co_u32_e32 v3, vcc, v9, v3, vcc
	v_cmp_eq_u64_e32 vcc, 0, v[2:3]
	v_cndmask_b32_e32 v3, v3, v9, vcc
	v_cndmask_b32_e32 v2, v2, v5, vcc
	v_and_b32_e32 v5, v3, v7
	v_and_b32_e32 v6, v2, v6
	v_mul_lo_u32 v5, v5, 24
	v_mul_hi_u32 v7, v6, 24
	v_mul_lo_u32 v6, v6, 24
	v_add_u32_e32 v5, v7, v5
	s_waitcnt vmcnt(0)
	v_add_co_u32_e32 v6, vcc, v12, v6
	v_addc_co_u32_e32 v7, vcc, v13, v5, vcc
	v_mov_b32_e32 v4, v10
	global_store_dwordx2 v[6:7], v[10:11], off
	v_mov_b32_e32 v5, v11
	buffer_wbl2
	s_waitcnt vmcnt(0)
	global_atomic_cmpswap_x2 v[4:5], v8, v[2:5], s[6:7] offset:24 glc
	s_waitcnt vmcnt(0)
	v_cmp_ne_u64_e32 vcc, v[4:5], v[10:11]
	s_and_b64 exec, exec, vcc
	s_cbranch_execz .LBB6_2550
.LBB6_2549:                             ; =>This Inner Loop Header: Depth=1
	s_sleep 1
	global_store_dwordx2 v[6:7], v[4:5], off
	buffer_wbl2
	s_waitcnt vmcnt(0)
	global_atomic_cmpswap_x2 v[10:11], v8, v[2:5], s[6:7] offset:24 glc
	s_waitcnt vmcnt(0)
	v_cmp_eq_u64_e32 vcc, v[10:11], v[4:5]
	s_or_b64 s[4:5], vcc, s[4:5]
	v_pk_mov_b32 v[4:5], v[10:11], v[10:11] op_sel:[0,1]
	s_andn2_b64 exec, exec, s[4:5]
	s_cbranch_execnz .LBB6_2549
.LBB6_2550:
	s_or_b64 exec, exec, s[10:11]
	s_getpc_b64 s[8:9]
	s_add_u32 s8, s8, .str.28@rel32@lo+4
	s_addc_u32 s9, s9, .str.28@rel32@hi+12
	s_cmp_lg_u64 s[8:9], 0
	s_cbranch_scc0 .LBB6_2642
; %bb.2551:
	s_waitcnt vmcnt(0)
	v_and_b32_e32 v6, -3, v0
	v_mov_b32_e32 v7, v1
	s_mov_b64 s[10:11], 35
	v_mov_b32_e32 v27, 0
	v_mov_b32_e32 v4, 2
	;; [unrolled: 1-line block ×3, first 2 shown]
	s_branch .LBB6_2553
.LBB6_2552:                             ;   in Loop: Header=BB6_2553 Depth=1
	s_or_b64 exec, exec, s[16:17]
	s_sub_u32 s10, s10, s12
	s_subb_u32 s11, s11, s13
	s_add_u32 s8, s8, s12
	s_addc_u32 s9, s9, s13
	s_cmp_lg_u64 s[10:11], 0
	s_cbranch_scc0 .LBB6_2641
.LBB6_2553:                             ; =>This Loop Header: Depth=1
                                        ;     Child Loop BB6_2556 Depth 2
                                        ;     Child Loop BB6_2564 Depth 2
	;; [unrolled: 1-line block ×11, first 2 shown]
	v_cmp_lt_u64_e64 s[4:5], s[10:11], 56
	s_and_b64 s[4:5], s[4:5], exec
	v_cmp_gt_u64_e64 s[4:5], s[10:11], 7
	s_cselect_b32 s13, s11, 0
	s_cselect_b32 s12, s10, 56
	s_and_b64 vcc, exec, s[4:5]
	s_cbranch_vccnz .LBB6_2558
; %bb.2554:                             ;   in Loop: Header=BB6_2553 Depth=1
	s_mov_b64 s[4:5], 0
	s_cmp_eq_u64 s[10:11], 0
	s_waitcnt vmcnt(0)
	v_pk_mov_b32 v[8:9], 0, 0
	s_cbranch_scc1 .LBB6_2557
; %bb.2555:                             ;   in Loop: Header=BB6_2553 Depth=1
	s_lshl_b64 s[14:15], s[12:13], 3
	s_mov_b64 s[16:17], 0
	v_pk_mov_b32 v[8:9], 0, 0
	s_mov_b64 s[18:19], s[8:9]
.LBB6_2556:                             ;   Parent Loop BB6_2553 Depth=1
                                        ; =>  This Inner Loop Header: Depth=2
	global_load_ubyte v2, v27, s[18:19]
	s_waitcnt vmcnt(0)
	v_and_b32_e32 v26, 0xffff, v2
	v_lshlrev_b64 v[2:3], s16, v[26:27]
	s_add_u32 s16, s16, 8
	s_addc_u32 s17, s17, 0
	s_add_u32 s18, s18, 1
	s_addc_u32 s19, s19, 0
	v_or_b32_e32 v8, v2, v8
	s_cmp_lg_u32 s14, s16
	v_or_b32_e32 v9, v3, v9
	s_cbranch_scc1 .LBB6_2556
.LBB6_2557:                             ;   in Loop: Header=BB6_2553 Depth=1
	s_mov_b32 s18, 0
	s_branch .LBB6_2559
.LBB6_2558:                             ;   in Loop: Header=BB6_2553 Depth=1
	s_mov_b64 s[4:5], -1
                                        ; implicit-def: $sgpr18
.LBB6_2559:                             ;   in Loop: Header=BB6_2553 Depth=1
	s_andn2_b64 vcc, exec, s[4:5]
	s_mov_b64 s[4:5], s[8:9]
	s_cbranch_vccnz .LBB6_2561
; %bb.2560:                             ;   in Loop: Header=BB6_2553 Depth=1
	global_load_dwordx2 v[8:9], v27, s[8:9]
	s_add_i32 s18, s12, -8
	s_add_u32 s4, s8, 8
	s_addc_u32 s5, s9, 0
.LBB6_2561:                             ;   in Loop: Header=BB6_2553 Depth=1
	s_cmp_gt_u32 s18, 7
	s_cbranch_scc1 .LBB6_2565
; %bb.2562:                             ;   in Loop: Header=BB6_2553 Depth=1
	s_cmp_eq_u32 s18, 0
	s_cbranch_scc1 .LBB6_2566
; %bb.2563:                             ;   in Loop: Header=BB6_2553 Depth=1
	s_mov_b64 s[14:15], 0
	v_pk_mov_b32 v[10:11], 0, 0
	s_mov_b64 s[16:17], 0
.LBB6_2564:                             ;   Parent Loop BB6_2553 Depth=1
                                        ; =>  This Inner Loop Header: Depth=2
	s_add_u32 s20, s4, s16
	s_addc_u32 s21, s5, s17
	global_load_ubyte v2, v27, s[20:21]
	s_add_u32 s16, s16, 1
	s_addc_u32 s17, s17, 0
	s_waitcnt vmcnt(0)
	v_and_b32_e32 v26, 0xffff, v2
	v_lshlrev_b64 v[2:3], s14, v[26:27]
	s_add_u32 s14, s14, 8
	s_addc_u32 s15, s15, 0
	v_or_b32_e32 v10, v2, v10
	s_cmp_lg_u32 s18, s16
	v_or_b32_e32 v11, v3, v11
	s_cbranch_scc1 .LBB6_2564
	s_branch .LBB6_2567
.LBB6_2565:                             ;   in Loop: Header=BB6_2553 Depth=1
	s_mov_b64 s[14:15], -1
                                        ; implicit-def: $vgpr10_vgpr11
                                        ; implicit-def: $sgpr19
	s_branch .LBB6_2568
.LBB6_2566:                             ;   in Loop: Header=BB6_2553 Depth=1
	v_pk_mov_b32 v[10:11], 0, 0
.LBB6_2567:                             ;   in Loop: Header=BB6_2553 Depth=1
	s_mov_b64 s[14:15], 0
	s_mov_b32 s19, 0
.LBB6_2568:                             ;   in Loop: Header=BB6_2553 Depth=1
	s_andn2_b64 vcc, exec, s[14:15]
	s_cbranch_vccnz .LBB6_2570
; %bb.2569:                             ;   in Loop: Header=BB6_2553 Depth=1
	global_load_dwordx2 v[10:11], v27, s[4:5]
	s_add_i32 s19, s18, -8
	s_add_u32 s4, s4, 8
	s_addc_u32 s5, s5, 0
.LBB6_2570:                             ;   in Loop: Header=BB6_2553 Depth=1
	s_cmp_gt_u32 s19, 7
	s_cbranch_scc1 .LBB6_2574
; %bb.2571:                             ;   in Loop: Header=BB6_2553 Depth=1
	s_cmp_eq_u32 s19, 0
	s_cbranch_scc1 .LBB6_2575
; %bb.2572:                             ;   in Loop: Header=BB6_2553 Depth=1
	s_mov_b64 s[14:15], 0
	v_pk_mov_b32 v[12:13], 0, 0
	s_mov_b64 s[16:17], 0
.LBB6_2573:                             ;   Parent Loop BB6_2553 Depth=1
                                        ; =>  This Inner Loop Header: Depth=2
	s_add_u32 s20, s4, s16
	s_addc_u32 s21, s5, s17
	global_load_ubyte v2, v27, s[20:21]
	s_add_u32 s16, s16, 1
	s_addc_u32 s17, s17, 0
	s_waitcnt vmcnt(0)
	v_and_b32_e32 v26, 0xffff, v2
	v_lshlrev_b64 v[2:3], s14, v[26:27]
	s_add_u32 s14, s14, 8
	s_addc_u32 s15, s15, 0
	v_or_b32_e32 v12, v2, v12
	s_cmp_lg_u32 s19, s16
	v_or_b32_e32 v13, v3, v13
	s_cbranch_scc1 .LBB6_2573
	s_branch .LBB6_2576
.LBB6_2574:                             ;   in Loop: Header=BB6_2553 Depth=1
	s_mov_b64 s[14:15], -1
                                        ; implicit-def: $sgpr18
	s_branch .LBB6_2577
.LBB6_2575:                             ;   in Loop: Header=BB6_2553 Depth=1
	v_pk_mov_b32 v[12:13], 0, 0
.LBB6_2576:                             ;   in Loop: Header=BB6_2553 Depth=1
	s_mov_b64 s[14:15], 0
	s_mov_b32 s18, 0
.LBB6_2577:                             ;   in Loop: Header=BB6_2553 Depth=1
	s_andn2_b64 vcc, exec, s[14:15]
	s_cbranch_vccnz .LBB6_2579
; %bb.2578:                             ;   in Loop: Header=BB6_2553 Depth=1
	global_load_dwordx2 v[12:13], v27, s[4:5]
	s_add_i32 s18, s19, -8
	s_add_u32 s4, s4, 8
	s_addc_u32 s5, s5, 0
.LBB6_2579:                             ;   in Loop: Header=BB6_2553 Depth=1
	s_cmp_gt_u32 s18, 7
	s_cbranch_scc1 .LBB6_2583
; %bb.2580:                             ;   in Loop: Header=BB6_2553 Depth=1
	s_cmp_eq_u32 s18, 0
	s_cbranch_scc1 .LBB6_2584
; %bb.2581:                             ;   in Loop: Header=BB6_2553 Depth=1
	s_mov_b64 s[14:15], 0
	v_pk_mov_b32 v[14:15], 0, 0
	s_mov_b64 s[16:17], 0
.LBB6_2582:                             ;   Parent Loop BB6_2553 Depth=1
                                        ; =>  This Inner Loop Header: Depth=2
	s_add_u32 s20, s4, s16
	s_addc_u32 s21, s5, s17
	global_load_ubyte v2, v27, s[20:21]
	s_add_u32 s16, s16, 1
	s_addc_u32 s17, s17, 0
	s_waitcnt vmcnt(0)
	v_and_b32_e32 v26, 0xffff, v2
	v_lshlrev_b64 v[2:3], s14, v[26:27]
	s_add_u32 s14, s14, 8
	s_addc_u32 s15, s15, 0
	v_or_b32_e32 v14, v2, v14
	s_cmp_lg_u32 s18, s16
	v_or_b32_e32 v15, v3, v15
	s_cbranch_scc1 .LBB6_2582
	s_branch .LBB6_2585
.LBB6_2583:                             ;   in Loop: Header=BB6_2553 Depth=1
	s_mov_b64 s[14:15], -1
                                        ; implicit-def: $vgpr14_vgpr15
                                        ; implicit-def: $sgpr19
	s_branch .LBB6_2586
.LBB6_2584:                             ;   in Loop: Header=BB6_2553 Depth=1
	v_pk_mov_b32 v[14:15], 0, 0
.LBB6_2585:                             ;   in Loop: Header=BB6_2553 Depth=1
	s_mov_b64 s[14:15], 0
	s_mov_b32 s19, 0
.LBB6_2586:                             ;   in Loop: Header=BB6_2553 Depth=1
	s_andn2_b64 vcc, exec, s[14:15]
	s_cbranch_vccnz .LBB6_2588
; %bb.2587:                             ;   in Loop: Header=BB6_2553 Depth=1
	global_load_dwordx2 v[14:15], v27, s[4:5]
	s_add_i32 s19, s18, -8
	s_add_u32 s4, s4, 8
	s_addc_u32 s5, s5, 0
.LBB6_2588:                             ;   in Loop: Header=BB6_2553 Depth=1
	s_cmp_gt_u32 s19, 7
	s_cbranch_scc1 .LBB6_2592
; %bb.2589:                             ;   in Loop: Header=BB6_2553 Depth=1
	s_cmp_eq_u32 s19, 0
	s_cbranch_scc1 .LBB6_2593
; %bb.2590:                             ;   in Loop: Header=BB6_2553 Depth=1
	s_mov_b64 s[14:15], 0
	v_pk_mov_b32 v[16:17], 0, 0
	s_mov_b64 s[16:17], 0
.LBB6_2591:                             ;   Parent Loop BB6_2553 Depth=1
                                        ; =>  This Inner Loop Header: Depth=2
	s_add_u32 s20, s4, s16
	s_addc_u32 s21, s5, s17
	global_load_ubyte v2, v27, s[20:21]
	s_add_u32 s16, s16, 1
	s_addc_u32 s17, s17, 0
	s_waitcnt vmcnt(0)
	v_and_b32_e32 v26, 0xffff, v2
	v_lshlrev_b64 v[2:3], s14, v[26:27]
	s_add_u32 s14, s14, 8
	s_addc_u32 s15, s15, 0
	v_or_b32_e32 v16, v2, v16
	s_cmp_lg_u32 s19, s16
	v_or_b32_e32 v17, v3, v17
	s_cbranch_scc1 .LBB6_2591
	s_branch .LBB6_2594
.LBB6_2592:                             ;   in Loop: Header=BB6_2553 Depth=1
	s_mov_b64 s[14:15], -1
                                        ; implicit-def: $sgpr18
	s_branch .LBB6_2595
.LBB6_2593:                             ;   in Loop: Header=BB6_2553 Depth=1
	v_pk_mov_b32 v[16:17], 0, 0
.LBB6_2594:                             ;   in Loop: Header=BB6_2553 Depth=1
	s_mov_b64 s[14:15], 0
	s_mov_b32 s18, 0
.LBB6_2595:                             ;   in Loop: Header=BB6_2553 Depth=1
	s_andn2_b64 vcc, exec, s[14:15]
	s_cbranch_vccnz .LBB6_2597
; %bb.2596:                             ;   in Loop: Header=BB6_2553 Depth=1
	global_load_dwordx2 v[16:17], v27, s[4:5]
	s_add_i32 s18, s19, -8
	s_add_u32 s4, s4, 8
	s_addc_u32 s5, s5, 0
.LBB6_2597:                             ;   in Loop: Header=BB6_2553 Depth=1
	s_cmp_gt_u32 s18, 7
	s_cbranch_scc1 .LBB6_2601
; %bb.2598:                             ;   in Loop: Header=BB6_2553 Depth=1
	s_cmp_eq_u32 s18, 0
	s_cbranch_scc1 .LBB6_2602
; %bb.2599:                             ;   in Loop: Header=BB6_2553 Depth=1
	s_mov_b64 s[14:15], 0
	v_pk_mov_b32 v[18:19], 0, 0
	s_mov_b64 s[16:17], 0
.LBB6_2600:                             ;   Parent Loop BB6_2553 Depth=1
                                        ; =>  This Inner Loop Header: Depth=2
	s_add_u32 s20, s4, s16
	s_addc_u32 s21, s5, s17
	global_load_ubyte v2, v27, s[20:21]
	s_add_u32 s16, s16, 1
	s_addc_u32 s17, s17, 0
	s_waitcnt vmcnt(0)
	v_and_b32_e32 v26, 0xffff, v2
	v_lshlrev_b64 v[2:3], s14, v[26:27]
	s_add_u32 s14, s14, 8
	s_addc_u32 s15, s15, 0
	v_or_b32_e32 v18, v2, v18
	s_cmp_lg_u32 s18, s16
	v_or_b32_e32 v19, v3, v19
	s_cbranch_scc1 .LBB6_2600
	s_branch .LBB6_2603
.LBB6_2601:                             ;   in Loop: Header=BB6_2553 Depth=1
	s_mov_b64 s[14:15], -1
                                        ; implicit-def: $vgpr18_vgpr19
                                        ; implicit-def: $sgpr19
	s_branch .LBB6_2604
.LBB6_2602:                             ;   in Loop: Header=BB6_2553 Depth=1
	v_pk_mov_b32 v[18:19], 0, 0
.LBB6_2603:                             ;   in Loop: Header=BB6_2553 Depth=1
	s_mov_b64 s[14:15], 0
	s_mov_b32 s19, 0
.LBB6_2604:                             ;   in Loop: Header=BB6_2553 Depth=1
	s_andn2_b64 vcc, exec, s[14:15]
	s_cbranch_vccnz .LBB6_2606
; %bb.2605:                             ;   in Loop: Header=BB6_2553 Depth=1
	global_load_dwordx2 v[18:19], v27, s[4:5]
	s_add_i32 s19, s18, -8
	s_add_u32 s4, s4, 8
	s_addc_u32 s5, s5, 0
.LBB6_2606:                             ;   in Loop: Header=BB6_2553 Depth=1
	s_cmp_gt_u32 s19, 7
	s_cbranch_scc1 .LBB6_2610
; %bb.2607:                             ;   in Loop: Header=BB6_2553 Depth=1
	s_cmp_eq_u32 s19, 0
	s_cbranch_scc1 .LBB6_2611
; %bb.2608:                             ;   in Loop: Header=BB6_2553 Depth=1
	s_mov_b64 s[14:15], 0
	v_pk_mov_b32 v[20:21], 0, 0
	s_mov_b64 s[16:17], s[4:5]
.LBB6_2609:                             ;   Parent Loop BB6_2553 Depth=1
                                        ; =>  This Inner Loop Header: Depth=2
	global_load_ubyte v2, v27, s[16:17]
	s_add_i32 s19, s19, -1
	s_waitcnt vmcnt(0)
	v_and_b32_e32 v26, 0xffff, v2
	v_lshlrev_b64 v[2:3], s14, v[26:27]
	s_add_u32 s14, s14, 8
	s_addc_u32 s15, s15, 0
	s_add_u32 s16, s16, 1
	s_addc_u32 s17, s17, 0
	v_or_b32_e32 v20, v2, v20
	s_cmp_lg_u32 s19, 0
	v_or_b32_e32 v21, v3, v21
	s_cbranch_scc1 .LBB6_2609
	s_branch .LBB6_2612
.LBB6_2610:                             ;   in Loop: Header=BB6_2553 Depth=1
	s_mov_b64 s[14:15], -1
	s_branch .LBB6_2613
.LBB6_2611:                             ;   in Loop: Header=BB6_2553 Depth=1
	v_pk_mov_b32 v[20:21], 0, 0
.LBB6_2612:                             ;   in Loop: Header=BB6_2553 Depth=1
	s_mov_b64 s[14:15], 0
.LBB6_2613:                             ;   in Loop: Header=BB6_2553 Depth=1
	s_andn2_b64 vcc, exec, s[14:15]
	s_cbranch_vccnz .LBB6_2615
; %bb.2614:                             ;   in Loop: Header=BB6_2553 Depth=1
	global_load_dwordx2 v[20:21], v27, s[4:5]
.LBB6_2615:                             ;   in Loop: Header=BB6_2553 Depth=1
	v_readfirstlane_b32 s4, v31
	v_cmp_eq_u32_e64 s[4:5], s4, v31
	v_pk_mov_b32 v[2:3], 0, 0
	s_and_saveexec_b64 s[14:15], s[4:5]
	s_cbranch_execz .LBB6_2621
; %bb.2616:                             ;   in Loop: Header=BB6_2553 Depth=1
	global_load_dwordx2 v[24:25], v27, s[6:7] offset:24 glc
	s_waitcnt vmcnt(0)
	buffer_invl2
	buffer_wbinvl1_vol
	global_load_dwordx2 v[2:3], v27, s[6:7] offset:40
	global_load_dwordx2 v[22:23], v27, s[6:7]
	s_waitcnt vmcnt(1)
	v_and_b32_e32 v2, v2, v24
	v_and_b32_e32 v3, v3, v25
	v_mul_lo_u32 v3, v3, 24
	v_mul_hi_u32 v26, v2, 24
	v_mul_lo_u32 v2, v2, 24
	v_add_u32_e32 v3, v26, v3
	s_waitcnt vmcnt(0)
	v_add_co_u32_e32 v2, vcc, v22, v2
	v_addc_co_u32_e32 v3, vcc, v23, v3, vcc
	global_load_dwordx2 v[22:23], v[2:3], off glc
	s_waitcnt vmcnt(0)
	global_atomic_cmpswap_x2 v[2:3], v27, v[22:25], s[6:7] offset:24 glc
	s_waitcnt vmcnt(0)
	buffer_invl2
	buffer_wbinvl1_vol
	v_cmp_ne_u64_e32 vcc, v[2:3], v[24:25]
	s_and_saveexec_b64 s[16:17], vcc
	s_cbranch_execz .LBB6_2620
; %bb.2617:                             ;   in Loop: Header=BB6_2553 Depth=1
	s_mov_b64 s[18:19], 0
.LBB6_2618:                             ;   Parent Loop BB6_2553 Depth=1
                                        ; =>  This Inner Loop Header: Depth=2
	s_sleep 1
	global_load_dwordx2 v[22:23], v27, s[6:7] offset:40
	global_load_dwordx2 v[28:29], v27, s[6:7]
	v_pk_mov_b32 v[24:25], v[2:3], v[2:3] op_sel:[0,1]
	s_waitcnt vmcnt(1)
	v_and_b32_e32 v2, v22, v24
	s_waitcnt vmcnt(0)
	v_mad_u64_u32 v[2:3], s[20:21], v2, 24, v[28:29]
	v_and_b32_e32 v23, v23, v25
	v_mov_b32_e32 v22, v3
	v_mad_u64_u32 v[22:23], s[20:21], v23, 24, v[22:23]
	v_mov_b32_e32 v3, v22
	global_load_dwordx2 v[22:23], v[2:3], off glc
	s_waitcnt vmcnt(0)
	global_atomic_cmpswap_x2 v[2:3], v27, v[22:25], s[6:7] offset:24 glc
	s_waitcnt vmcnt(0)
	buffer_invl2
	buffer_wbinvl1_vol
	v_cmp_eq_u64_e32 vcc, v[2:3], v[24:25]
	s_or_b64 s[18:19], vcc, s[18:19]
	s_andn2_b64 exec, exec, s[18:19]
	s_cbranch_execnz .LBB6_2618
; %bb.2619:                             ;   in Loop: Header=BB6_2553 Depth=1
	s_or_b64 exec, exec, s[18:19]
.LBB6_2620:                             ;   in Loop: Header=BB6_2553 Depth=1
	s_or_b64 exec, exec, s[16:17]
.LBB6_2621:                             ;   in Loop: Header=BB6_2553 Depth=1
	s_or_b64 exec, exec, s[14:15]
	global_load_dwordx2 v[28:29], v27, s[6:7] offset:40
	global_load_dwordx4 v[22:25], v27, s[6:7]
	v_readfirstlane_b32 s14, v2
	v_readfirstlane_b32 s15, v3
	s_mov_b64 s[16:17], exec
	s_waitcnt vmcnt(1)
	v_readfirstlane_b32 s18, v28
	v_readfirstlane_b32 s19, v29
	s_and_b64 s[18:19], s[14:15], s[18:19]
	s_mul_i32 s20, s19, 24
	s_mul_hi_u32 s21, s18, 24
	s_mul_i32 s22, s18, 24
	s_add_i32 s20, s21, s20
	v_mov_b32_e32 v2, s20
	s_waitcnt vmcnt(0)
	v_add_co_u32_e32 v28, vcc, s22, v22
	v_addc_co_u32_e32 v29, vcc, v23, v2, vcc
	s_and_saveexec_b64 s[20:21], s[4:5]
	s_cbranch_execz .LBB6_2623
; %bb.2622:                             ;   in Loop: Header=BB6_2553 Depth=1
	v_pk_mov_b32 v[2:3], s[16:17], s[16:17] op_sel:[0,1]
	global_store_dwordx4 v[28:29], v[2:5], off offset:8
.LBB6_2623:                             ;   in Loop: Header=BB6_2553 Depth=1
	s_or_b64 exec, exec, s[20:21]
	s_lshl_b64 s[16:17], s[18:19], 12
	v_mov_b32_e32 v3, s17
	v_add_co_u32_e32 v2, vcc, s16, v24
	v_addc_co_u32_e32 v3, vcc, v25, v3, vcc
	v_or_b32_e32 v24, 2, v6
	v_cmp_gt_u64_e64 vcc, s[10:11], 56
	s_lshl_b32 s16, s12, 2
	v_cndmask_b32_e32 v6, v24, v6, vcc
	s_add_i32 s16, s16, 28
	s_and_b32 s16, s16, 0x1e0
	v_and_b32_e32 v6, 0xffffff1f, v6
	v_or_b32_e32 v6, s16, v6
	v_readfirstlane_b32 s16, v2
	v_readfirstlane_b32 s17, v3
	s_nop 4
	global_store_dwordx4 v30, v[6:9], s[16:17]
	global_store_dwordx4 v30, v[10:13], s[16:17] offset:16
	global_store_dwordx4 v30, v[14:17], s[16:17] offset:32
	;; [unrolled: 1-line block ×3, first 2 shown]
	s_and_saveexec_b64 s[16:17], s[4:5]
	s_cbranch_execz .LBB6_2631
; %bb.2624:                             ;   in Loop: Header=BB6_2553 Depth=1
	global_load_dwordx2 v[14:15], v27, s[6:7] offset:32 glc
	global_load_dwordx2 v[6:7], v27, s[6:7] offset:40
	v_mov_b32_e32 v12, s14
	v_mov_b32_e32 v13, s15
	s_waitcnt vmcnt(0)
	v_readfirstlane_b32 s18, v6
	v_readfirstlane_b32 s19, v7
	s_and_b64 s[18:19], s[18:19], s[14:15]
	s_mul_i32 s19, s19, 24
	s_mul_hi_u32 s20, s18, 24
	s_mul_i32 s18, s18, 24
	s_add_i32 s19, s20, s19
	v_mov_b32_e32 v6, s19
	v_add_co_u32_e32 v10, vcc, s18, v22
	v_addc_co_u32_e32 v11, vcc, v23, v6, vcc
	global_store_dwordx2 v[10:11], v[14:15], off
	buffer_wbl2
	s_waitcnt vmcnt(0)
	global_atomic_cmpswap_x2 v[8:9], v27, v[12:15], s[6:7] offset:32 glc
	s_waitcnt vmcnt(0)
	v_cmp_ne_u64_e32 vcc, v[8:9], v[14:15]
	s_and_saveexec_b64 s[18:19], vcc
	s_cbranch_execz .LBB6_2627
; %bb.2625:                             ;   in Loop: Header=BB6_2553 Depth=1
	s_mov_b64 s[20:21], 0
.LBB6_2626:                             ;   Parent Loop BB6_2553 Depth=1
                                        ; =>  This Inner Loop Header: Depth=2
	s_sleep 1
	global_store_dwordx2 v[10:11], v[8:9], off
	v_mov_b32_e32 v6, s14
	v_mov_b32_e32 v7, s15
	buffer_wbl2
	s_waitcnt vmcnt(0)
	global_atomic_cmpswap_x2 v[6:7], v27, v[6:9], s[6:7] offset:32 glc
	s_waitcnt vmcnt(0)
	v_cmp_eq_u64_e32 vcc, v[6:7], v[8:9]
	s_or_b64 s[20:21], vcc, s[20:21]
	v_pk_mov_b32 v[8:9], v[6:7], v[6:7] op_sel:[0,1]
	s_andn2_b64 exec, exec, s[20:21]
	s_cbranch_execnz .LBB6_2626
.LBB6_2627:                             ;   in Loop: Header=BB6_2553 Depth=1
	s_or_b64 exec, exec, s[18:19]
	global_load_dwordx2 v[6:7], v27, s[6:7] offset:16
	s_mov_b64 s[20:21], exec
	v_mbcnt_lo_u32_b32 v8, s20, 0
	v_mbcnt_hi_u32_b32 v8, s21, v8
	v_cmp_eq_u32_e32 vcc, 0, v8
	s_and_saveexec_b64 s[18:19], vcc
	s_cbranch_execz .LBB6_2629
; %bb.2628:                             ;   in Loop: Header=BB6_2553 Depth=1
	s_bcnt1_i32_b64 s20, s[20:21]
	v_mov_b32_e32 v26, s20
	buffer_wbl2
	s_waitcnt vmcnt(0)
	global_atomic_add_x2 v[6:7], v[26:27], off offset:8
.LBB6_2629:                             ;   in Loop: Header=BB6_2553 Depth=1
	s_or_b64 exec, exec, s[18:19]
	s_waitcnt vmcnt(0)
	global_load_dwordx2 v[8:9], v[6:7], off offset:16
	s_waitcnt vmcnt(0)
	v_cmp_eq_u64_e32 vcc, 0, v[8:9]
	s_cbranch_vccnz .LBB6_2631
; %bb.2630:                             ;   in Loop: Header=BB6_2553 Depth=1
	global_load_dword v26, v[6:7], off offset:24
	s_waitcnt vmcnt(0)
	v_and_b32_e32 v6, 0xffffff, v26
	v_readfirstlane_b32 m0, v6
	buffer_wbl2
	global_store_dwordx2 v[8:9], v[26:27], off
	s_sendmsg sendmsg(MSG_INTERRUPT)
.LBB6_2631:                             ;   in Loop: Header=BB6_2553 Depth=1
	s_or_b64 exec, exec, s[16:17]
	v_add_co_u32_e32 v2, vcc, v2, v30
	v_addc_co_u32_e32 v3, vcc, 0, v3, vcc
	s_branch .LBB6_2633
.LBB6_2632:                             ;   in Loop: Header=BB6_2553 Depth=1
	s_branch .LBB6_2637
.LBB6_2633:                             ;   Parent Loop BB6_2553 Depth=1
                                        ; =>  This Inner Loop Header: Depth=2
	v_mov_b32_e32 v6, 1
	s_and_saveexec_b64 s[16:17], s[4:5]
	s_cbranch_execz .LBB6_2635
; %bb.2634:                             ;   in Loop: Header=BB6_2633 Depth=2
	global_load_dword v6, v[28:29], off offset:20 glc
	s_waitcnt vmcnt(0)
	buffer_invl2
	buffer_wbinvl1_vol
	v_and_b32_e32 v6, 1, v6
.LBB6_2635:                             ;   in Loop: Header=BB6_2633 Depth=2
	s_or_b64 exec, exec, s[16:17]
	v_readfirstlane_b32 s16, v6
	s_cmp_eq_u32 s16, 0
	s_cbranch_scc1 .LBB6_2632
; %bb.2636:                             ;   in Loop: Header=BB6_2633 Depth=2
	s_sleep 1
	s_cbranch_execnz .LBB6_2633
.LBB6_2637:                             ;   in Loop: Header=BB6_2553 Depth=1
	global_load_dwordx4 v[6:9], v[2:3], off
	s_and_saveexec_b64 s[16:17], s[4:5]
	s_cbranch_execz .LBB6_2552
; %bb.2638:                             ;   in Loop: Header=BB6_2553 Depth=1
	global_load_dwordx2 v[2:3], v27, s[6:7] offset:40
	global_load_dwordx2 v[12:13], v27, s[6:7] offset:24 glc
	global_load_dwordx2 v[14:15], v27, s[6:7]
	s_waitcnt vmcnt(3)
	v_mov_b32_e32 v9, s15
	s_waitcnt vmcnt(2)
	v_add_co_u32_e32 v11, vcc, 1, v2
	v_addc_co_u32_e32 v16, vcc, 0, v3, vcc
	v_add_co_u32_e32 v8, vcc, s14, v11
	v_addc_co_u32_e32 v9, vcc, v16, v9, vcc
	v_cmp_eq_u64_e32 vcc, 0, v[8:9]
	v_cndmask_b32_e32 v9, v9, v16, vcc
	v_cndmask_b32_e32 v8, v8, v11, vcc
	v_and_b32_e32 v3, v9, v3
	v_and_b32_e32 v2, v8, v2
	v_mul_lo_u32 v3, v3, 24
	v_mul_hi_u32 v11, v2, 24
	v_mul_lo_u32 v2, v2, 24
	v_add_u32_e32 v3, v11, v3
	s_waitcnt vmcnt(0)
	v_add_co_u32_e32 v2, vcc, v14, v2
	v_addc_co_u32_e32 v3, vcc, v15, v3, vcc
	v_mov_b32_e32 v10, v12
	global_store_dwordx2 v[2:3], v[12:13], off
	v_mov_b32_e32 v11, v13
	buffer_wbl2
	s_waitcnt vmcnt(0)
	global_atomic_cmpswap_x2 v[10:11], v27, v[8:11], s[6:7] offset:24 glc
	s_waitcnt vmcnt(0)
	v_cmp_ne_u64_e32 vcc, v[10:11], v[12:13]
	s_and_b64 exec, exec, vcc
	s_cbranch_execz .LBB6_2552
; %bb.2639:                             ;   in Loop: Header=BB6_2553 Depth=1
	s_mov_b64 s[4:5], 0
.LBB6_2640:                             ;   Parent Loop BB6_2553 Depth=1
                                        ; =>  This Inner Loop Header: Depth=2
	s_sleep 1
	global_store_dwordx2 v[2:3], v[10:11], off
	buffer_wbl2
	s_waitcnt vmcnt(0)
	global_atomic_cmpswap_x2 v[12:13], v27, v[8:11], s[6:7] offset:24 glc
	s_waitcnt vmcnt(0)
	v_cmp_eq_u64_e32 vcc, v[12:13], v[10:11]
	s_or_b64 s[4:5], vcc, s[4:5]
	v_pk_mov_b32 v[10:11], v[12:13], v[12:13] op_sel:[0,1]
	s_andn2_b64 exec, exec, s[4:5]
	s_cbranch_execnz .LBB6_2640
	s_branch .LBB6_2552
.LBB6_2641:
	s_mov_b64 s[4:5], 0
	s_branch .LBB6_2643
.LBB6_2642:
	s_mov_b64 s[4:5], -1
.LBB6_2643:
	s_and_b64 vcc, exec, s[4:5]
	s_cbranch_vccz .LBB6_2670
; %bb.2644:
	v_readfirstlane_b32 s4, v31
	v_cmp_eq_u32_e64 s[4:5], s4, v31
	s_waitcnt vmcnt(0)
	v_pk_mov_b32 v[8:9], 0, 0
	s_and_saveexec_b64 s[8:9], s[4:5]
	s_cbranch_execz .LBB6_2650
; %bb.2645:
	v_mov_b32_e32 v2, 0
	global_load_dwordx2 v[6:7], v2, s[6:7] offset:24 glc
	s_waitcnt vmcnt(0)
	buffer_invl2
	buffer_wbinvl1_vol
	global_load_dwordx2 v[4:5], v2, s[6:7] offset:40
	global_load_dwordx2 v[8:9], v2, s[6:7]
	s_waitcnt vmcnt(1)
	v_and_b32_e32 v3, v4, v6
	v_and_b32_e32 v4, v5, v7
	v_mul_lo_u32 v4, v4, 24
	v_mul_hi_u32 v5, v3, 24
	v_mul_lo_u32 v3, v3, 24
	v_add_u32_e32 v5, v5, v4
	s_waitcnt vmcnt(0)
	v_add_co_u32_e32 v4, vcc, v8, v3
	v_addc_co_u32_e32 v5, vcc, v9, v5, vcc
	global_load_dwordx2 v[4:5], v[4:5], off glc
	s_waitcnt vmcnt(0)
	global_atomic_cmpswap_x2 v[8:9], v2, v[4:7], s[6:7] offset:24 glc
	s_waitcnt vmcnt(0)
	buffer_invl2
	buffer_wbinvl1_vol
	v_cmp_ne_u64_e32 vcc, v[8:9], v[6:7]
	s_and_saveexec_b64 s[10:11], vcc
	s_cbranch_execz .LBB6_2649
; %bb.2646:
	s_mov_b64 s[12:13], 0
.LBB6_2647:                             ; =>This Inner Loop Header: Depth=1
	s_sleep 1
	global_load_dwordx2 v[4:5], v2, s[6:7] offset:40
	global_load_dwordx2 v[10:11], v2, s[6:7]
	v_pk_mov_b32 v[6:7], v[8:9], v[8:9] op_sel:[0,1]
	s_waitcnt vmcnt(1)
	v_and_b32_e32 v4, v4, v6
	v_and_b32_e32 v3, v5, v7
	s_waitcnt vmcnt(0)
	v_mad_u64_u32 v[4:5], s[14:15], v4, 24, v[10:11]
	v_mov_b32_e32 v8, v5
	v_mad_u64_u32 v[8:9], s[14:15], v3, 24, v[8:9]
	v_mov_b32_e32 v5, v8
	global_load_dwordx2 v[4:5], v[4:5], off glc
	s_waitcnt vmcnt(0)
	global_atomic_cmpswap_x2 v[8:9], v2, v[4:7], s[6:7] offset:24 glc
	s_waitcnt vmcnt(0)
	buffer_invl2
	buffer_wbinvl1_vol
	v_cmp_eq_u64_e32 vcc, v[8:9], v[6:7]
	s_or_b64 s[12:13], vcc, s[12:13]
	s_andn2_b64 exec, exec, s[12:13]
	s_cbranch_execnz .LBB6_2647
; %bb.2648:
	s_or_b64 exec, exec, s[12:13]
.LBB6_2649:
	s_or_b64 exec, exec, s[10:11]
.LBB6_2650:
	s_or_b64 exec, exec, s[8:9]
	v_mov_b32_e32 v2, 0
	global_load_dwordx2 v[10:11], v2, s[6:7] offset:40
	global_load_dwordx4 v[4:7], v2, s[6:7]
	v_readfirstlane_b32 s8, v8
	v_readfirstlane_b32 s9, v9
	s_mov_b64 s[10:11], exec
	s_waitcnt vmcnt(1)
	v_readfirstlane_b32 s12, v10
	v_readfirstlane_b32 s13, v11
	s_and_b64 s[12:13], s[8:9], s[12:13]
	s_mul_i32 s14, s13, 24
	s_mul_hi_u32 s15, s12, 24
	s_mul_i32 s16, s12, 24
	s_add_i32 s14, s15, s14
	v_mov_b32_e32 v3, s14
	s_waitcnt vmcnt(0)
	v_add_co_u32_e32 v8, vcc, s16, v4
	v_addc_co_u32_e32 v9, vcc, v5, v3, vcc
	s_and_saveexec_b64 s[14:15], s[4:5]
	s_cbranch_execz .LBB6_2652
; %bb.2651:
	v_pk_mov_b32 v[10:11], s[10:11], s[10:11] op_sel:[0,1]
	v_mov_b32_e32 v12, 2
	v_mov_b32_e32 v13, 1
	global_store_dwordx4 v[8:9], v[10:13], off offset:8
.LBB6_2652:
	s_or_b64 exec, exec, s[14:15]
	s_lshl_b64 s[10:11], s[12:13], 12
	v_mov_b32_e32 v3, s11
	v_add_co_u32_e32 v6, vcc, s10, v6
	v_addc_co_u32_e32 v7, vcc, v7, v3, vcc
	s_movk_i32 s10, 0xff1d
	s_mov_b32 s12, 0
	v_and_or_b32 v0, v0, s10, 34
	v_mov_b32_e32 v3, v2
	v_readfirstlane_b32 s10, v6
	v_readfirstlane_b32 s11, v7
	s_mov_b32 s13, s12
	s_mov_b32 s14, s12
	;; [unrolled: 1-line block ×3, first 2 shown]
	s_nop 1
	global_store_dwordx4 v30, v[0:3], s[10:11]
	s_nop 0
	v_pk_mov_b32 v[0:1], s[12:13], s[12:13] op_sel:[0,1]
	v_pk_mov_b32 v[2:3], s[14:15], s[14:15] op_sel:[0,1]
	global_store_dwordx4 v30, v[0:3], s[10:11] offset:16
	global_store_dwordx4 v30, v[0:3], s[10:11] offset:32
	;; [unrolled: 1-line block ×3, first 2 shown]
	s_and_saveexec_b64 s[10:11], s[4:5]
	s_cbranch_execz .LBB6_2660
; %bb.2653:
	v_mov_b32_e32 v6, 0
	global_load_dwordx2 v[12:13], v6, s[6:7] offset:32 glc
	global_load_dwordx2 v[0:1], v6, s[6:7] offset:40
	v_mov_b32_e32 v10, s8
	v_mov_b32_e32 v11, s9
	s_waitcnt vmcnt(0)
	v_readfirstlane_b32 s12, v0
	v_readfirstlane_b32 s13, v1
	s_and_b64 s[12:13], s[12:13], s[8:9]
	s_mul_i32 s13, s13, 24
	s_mul_hi_u32 s14, s12, 24
	s_mul_i32 s12, s12, 24
	s_add_i32 s13, s14, s13
	v_mov_b32_e32 v0, s13
	v_add_co_u32_e32 v4, vcc, s12, v4
	v_addc_co_u32_e32 v5, vcc, v5, v0, vcc
	global_store_dwordx2 v[4:5], v[12:13], off
	buffer_wbl2
	s_waitcnt vmcnt(0)
	global_atomic_cmpswap_x2 v[2:3], v6, v[10:13], s[6:7] offset:32 glc
	s_waitcnt vmcnt(0)
	v_cmp_ne_u64_e32 vcc, v[2:3], v[12:13]
	s_and_saveexec_b64 s[12:13], vcc
	s_cbranch_execz .LBB6_2656
; %bb.2654:
	s_mov_b64 s[14:15], 0
.LBB6_2655:                             ; =>This Inner Loop Header: Depth=1
	s_sleep 1
	global_store_dwordx2 v[4:5], v[2:3], off
	v_mov_b32_e32 v0, s8
	v_mov_b32_e32 v1, s9
	buffer_wbl2
	s_waitcnt vmcnt(0)
	global_atomic_cmpswap_x2 v[0:1], v6, v[0:3], s[6:7] offset:32 glc
	s_waitcnt vmcnt(0)
	v_cmp_eq_u64_e32 vcc, v[0:1], v[2:3]
	s_or_b64 s[14:15], vcc, s[14:15]
	v_pk_mov_b32 v[2:3], v[0:1], v[0:1] op_sel:[0,1]
	s_andn2_b64 exec, exec, s[14:15]
	s_cbranch_execnz .LBB6_2655
.LBB6_2656:
	s_or_b64 exec, exec, s[12:13]
	v_mov_b32_e32 v3, 0
	global_load_dwordx2 v[0:1], v3, s[6:7] offset:16
	s_mov_b64 s[12:13], exec
	v_mbcnt_lo_u32_b32 v2, s12, 0
	v_mbcnt_hi_u32_b32 v2, s13, v2
	v_cmp_eq_u32_e32 vcc, 0, v2
	s_and_saveexec_b64 s[14:15], vcc
	s_cbranch_execz .LBB6_2658
; %bb.2657:
	s_bcnt1_i32_b64 s12, s[12:13]
	v_mov_b32_e32 v2, s12
	buffer_wbl2
	s_waitcnt vmcnt(0)
	global_atomic_add_x2 v[0:1], v[2:3], off offset:8
.LBB6_2658:
	s_or_b64 exec, exec, s[14:15]
	s_waitcnt vmcnt(0)
	global_load_dwordx2 v[2:3], v[0:1], off offset:16
	s_waitcnt vmcnt(0)
	v_cmp_eq_u64_e32 vcc, 0, v[2:3]
	s_cbranch_vccnz .LBB6_2660
; %bb.2659:
	global_load_dword v0, v[0:1], off offset:24
	v_mov_b32_e32 v1, 0
	buffer_wbl2
	s_waitcnt vmcnt(0)
	global_store_dwordx2 v[2:3], v[0:1], off
	v_and_b32_e32 v0, 0xffffff, v0
	v_readfirstlane_b32 m0, v0
	s_sendmsg sendmsg(MSG_INTERRUPT)
.LBB6_2660:
	s_or_b64 exec, exec, s[10:11]
	s_branch .LBB6_2662
.LBB6_2661:
	s_branch .LBB6_2666
.LBB6_2662:                             ; =>This Inner Loop Header: Depth=1
	v_mov_b32_e32 v0, 1
	s_and_saveexec_b64 s[10:11], s[4:5]
	s_cbranch_execz .LBB6_2664
; %bb.2663:                             ;   in Loop: Header=BB6_2662 Depth=1
	global_load_dword v0, v[8:9], off offset:20 glc
	s_waitcnt vmcnt(0)
	buffer_invl2
	buffer_wbinvl1_vol
	v_and_b32_e32 v0, 1, v0
.LBB6_2664:                             ;   in Loop: Header=BB6_2662 Depth=1
	s_or_b64 exec, exec, s[10:11]
	v_readfirstlane_b32 s10, v0
	s_cmp_eq_u32 s10, 0
	s_cbranch_scc1 .LBB6_2661
; %bb.2665:                             ;   in Loop: Header=BB6_2662 Depth=1
	s_sleep 1
	s_cbranch_execnz .LBB6_2662
.LBB6_2666:
	s_and_saveexec_b64 s[10:11], s[4:5]
	s_cbranch_execz .LBB6_2669
; %bb.2667:
	v_mov_b32_e32 v6, 0
	global_load_dwordx2 v[4:5], v6, s[6:7] offset:40
	global_load_dwordx2 v[8:9], v6, s[6:7] offset:24 glc
	global_load_dwordx2 v[10:11], v6, s[6:7]
	v_mov_b32_e32 v1, s9
	s_mov_b64 s[4:5], 0
	s_waitcnt vmcnt(2)
	v_add_co_u32_e32 v3, vcc, 1, v4
	v_addc_co_u32_e32 v7, vcc, 0, v5, vcc
	v_add_co_u32_e32 v0, vcc, s8, v3
	v_addc_co_u32_e32 v1, vcc, v7, v1, vcc
	v_cmp_eq_u64_e32 vcc, 0, v[0:1]
	v_cndmask_b32_e32 v1, v1, v7, vcc
	v_cndmask_b32_e32 v0, v0, v3, vcc
	v_and_b32_e32 v3, v1, v5
	v_and_b32_e32 v4, v0, v4
	v_mul_lo_u32 v3, v3, 24
	v_mul_hi_u32 v5, v4, 24
	v_mul_lo_u32 v4, v4, 24
	v_add_u32_e32 v3, v5, v3
	s_waitcnt vmcnt(0)
	v_add_co_u32_e32 v4, vcc, v10, v4
	v_addc_co_u32_e32 v5, vcc, v11, v3, vcc
	v_mov_b32_e32 v2, v8
	global_store_dwordx2 v[4:5], v[8:9], off
	v_mov_b32_e32 v3, v9
	buffer_wbl2
	s_waitcnt vmcnt(0)
	global_atomic_cmpswap_x2 v[2:3], v6, v[0:3], s[6:7] offset:24 glc
	s_waitcnt vmcnt(0)
	v_cmp_ne_u64_e32 vcc, v[2:3], v[8:9]
	s_and_b64 exec, exec, vcc
	s_cbranch_execz .LBB6_2669
.LBB6_2668:                             ; =>This Inner Loop Header: Depth=1
	s_sleep 1
	global_store_dwordx2 v[4:5], v[2:3], off
	buffer_wbl2
	s_waitcnt vmcnt(0)
	global_atomic_cmpswap_x2 v[8:9], v6, v[0:3], s[6:7] offset:24 glc
	s_waitcnt vmcnt(0)
	v_cmp_eq_u64_e32 vcc, v[8:9], v[2:3]
	s_or_b64 s[4:5], vcc, s[4:5]
	v_pk_mov_b32 v[2:3], v[8:9], v[8:9] op_sel:[0,1]
	s_andn2_b64 exec, exec, s[4:5]
	s_cbranch_execnz .LBB6_2668
.LBB6_2669:
	s_or_b64 exec, exec, s[10:11]
.LBB6_2670:
	s_getpc_b64 s[4:5]
	s_add_u32 s4, s4, .str.29@rel32@lo+4
	s_addc_u32 s5, s5, .str.29@rel32@hi+12
	s_getpc_b64 s[6:7]
	s_add_u32 s6, s6, .str.19@rel32@lo+4
	s_addc_u32 s7, s7, .str.19@rel32@hi+12
	s_getpc_b64 s[10:11]
	s_add_u32 s10, s10, __PRETTY_FUNCTION__._ZN7VecsMemIjLi8192EE5fetchEi@rel32@lo+4
	s_addc_u32 s11, s11, __PRETTY_FUNCTION__._ZN7VecsMemIjLi8192EE5fetchEi@rel32@hi+12
	s_mov_b64 s[8:9], s[48:49]
	s_waitcnt vmcnt(0)
	v_mov_b32_e32 v0, s4
	v_mov_b32_e32 v1, s5
	;; [unrolled: 1-line block ×7, first 2 shown]
	s_getpc_b64 s[12:13]
	s_add_u32 s12, s12, __assert_fail@rel32@lo+4
	s_addc_u32 s13, s13, __assert_fail@rel32@hi+12
	s_swappc_b64 s[30:31], s[12:13]
	s_or_b64 s[28:29], s[28:29], exec
                                        ; implicit-def: $vgpr40
.LBB6_2671:
	s_or_b64 exec, exec, s[34:35]
	v_readlane_b32 s4, v62, 42
	v_readlane_b32 s5, v62, 43
	s_andn2_b64 s[4:5], s[4:5], exec
	s_and_b64 s[6:7], s[28:29], exec
	s_or_b64 s[28:29], s[4:5], s[6:7]
	s_and_b64 s[26:27], s[26:27], exec
.LBB6_2672:
	s_andn2_saveexec_b64 s[34:35], s[68:69]
	s_cbranch_execz .LBB6_2819
; %bb.2673:
	s_load_dwordx2 s[6:7], s[48:49], 0x50
	v_mbcnt_lo_u32_b32 v0, -1, 0
	v_mbcnt_hi_u32_b32 v31, -1, v0
	v_readfirstlane_b32 s4, v31
	v_cmp_eq_u32_e64 s[4:5], s4, v31
	v_pk_mov_b32 v[6:7], 0, 0
	s_and_saveexec_b64 s[8:9], s[4:5]
	s_cbranch_execz .LBB6_2679
; %bb.2674:
	v_mov_b32_e32 v0, 0
	s_waitcnt lgkmcnt(0)
	global_load_dwordx2 v[4:5], v0, s[6:7] offset:24 glc
	s_waitcnt vmcnt(0)
	buffer_invl2
	buffer_wbinvl1_vol
	global_load_dwordx2 v[2:3], v0, s[6:7] offset:40
	global_load_dwordx2 v[6:7], v0, s[6:7]
	s_waitcnt vmcnt(1)
	v_and_b32_e32 v1, v2, v4
	v_and_b32_e32 v2, v3, v5
	v_mul_lo_u32 v2, v2, 24
	v_mul_hi_u32 v3, v1, 24
	v_mul_lo_u32 v1, v1, 24
	v_add_u32_e32 v3, v3, v2
	s_waitcnt vmcnt(0)
	v_add_co_u32_e32 v2, vcc, v6, v1
	v_addc_co_u32_e32 v3, vcc, v7, v3, vcc
	global_load_dwordx2 v[2:3], v[2:3], off glc
	s_waitcnt vmcnt(0)
	global_atomic_cmpswap_x2 v[6:7], v0, v[2:5], s[6:7] offset:24 glc
	s_waitcnt vmcnt(0)
	buffer_invl2
	buffer_wbinvl1_vol
	v_cmp_ne_u64_e32 vcc, v[6:7], v[4:5]
	s_and_saveexec_b64 s[10:11], vcc
	s_cbranch_execz .LBB6_2678
; %bb.2675:
	s_mov_b64 s[12:13], 0
.LBB6_2676:                             ; =>This Inner Loop Header: Depth=1
	s_sleep 1
	global_load_dwordx2 v[2:3], v0, s[6:7] offset:40
	global_load_dwordx2 v[8:9], v0, s[6:7]
	v_pk_mov_b32 v[4:5], v[6:7], v[6:7] op_sel:[0,1]
	s_waitcnt vmcnt(1)
	v_and_b32_e32 v2, v2, v4
	v_and_b32_e32 v1, v3, v5
	s_waitcnt vmcnt(0)
	v_mad_u64_u32 v[2:3], s[14:15], v2, 24, v[8:9]
	v_mov_b32_e32 v6, v3
	v_mad_u64_u32 v[6:7], s[14:15], v1, 24, v[6:7]
	v_mov_b32_e32 v3, v6
	global_load_dwordx2 v[2:3], v[2:3], off glc
	s_waitcnt vmcnt(0)
	global_atomic_cmpswap_x2 v[6:7], v0, v[2:5], s[6:7] offset:24 glc
	s_waitcnt vmcnt(0)
	buffer_invl2
	buffer_wbinvl1_vol
	v_cmp_eq_u64_e32 vcc, v[6:7], v[4:5]
	s_or_b64 s[12:13], vcc, s[12:13]
	s_andn2_b64 exec, exec, s[12:13]
	s_cbranch_execnz .LBB6_2676
; %bb.2677:
	s_or_b64 exec, exec, s[12:13]
.LBB6_2678:
	s_or_b64 exec, exec, s[10:11]
.LBB6_2679:
	s_or_b64 exec, exec, s[8:9]
	v_mov_b32_e32 v5, 0
	s_waitcnt lgkmcnt(0)
	global_load_dwordx2 v[8:9], v5, s[6:7] offset:40
	global_load_dwordx4 v[0:3], v5, s[6:7]
	v_readfirstlane_b32 s8, v6
	v_readfirstlane_b32 s9, v7
	s_mov_b64 s[10:11], exec
	s_waitcnt vmcnt(0)
	v_readfirstlane_b32 s12, v8
	v_readfirstlane_b32 s13, v9
	s_and_b64 s[12:13], s[8:9], s[12:13]
	s_mul_i32 s14, s13, 24
	s_mul_hi_u32 s15, s12, 24
	s_mul_i32 s16, s12, 24
	s_add_i32 s14, s15, s14
	v_mov_b32_e32 v4, s14
	v_add_co_u32_e32 v8, vcc, s16, v0
	v_addc_co_u32_e32 v9, vcc, v1, v4, vcc
	s_and_saveexec_b64 s[14:15], s[4:5]
	s_cbranch_execz .LBB6_2681
; %bb.2680:
	v_pk_mov_b32 v[10:11], s[10:11], s[10:11] op_sel:[0,1]
	v_mov_b32_e32 v12, 2
	v_mov_b32_e32 v13, 1
	global_store_dwordx4 v[8:9], v[10:13], off offset:8
.LBB6_2681:
	s_or_b64 exec, exec, s[14:15]
	s_lshl_b64 s[10:11], s[12:13], 12
	v_mov_b32_e32 v4, s11
	v_add_co_u32_e32 v2, vcc, s10, v2
	v_addc_co_u32_e32 v3, vcc, v3, v4, vcc
	s_mov_b32 s12, 0
	v_lshlrev_b32_e32 v30, 6, v31
	v_add_co_u32_e32 v10, vcc, v2, v30
	v_mov_b32_e32 v4, 33
	v_mov_b32_e32 v6, v5
	v_mov_b32_e32 v7, v5
	v_readfirstlane_b32 s10, v2
	v_readfirstlane_b32 s11, v3
	s_mov_b32 s13, s12
	v_addc_co_u32_e32 v11, vcc, 0, v3, vcc
	s_mov_b32 s14, s12
	s_mov_b32 s15, s12
	s_nop 0
	global_store_dwordx4 v30, v[4:7], s[10:11]
	v_pk_mov_b32 v[2:3], s[12:13], s[12:13] op_sel:[0,1]
	v_pk_mov_b32 v[4:5], s[14:15], s[14:15] op_sel:[0,1]
	global_store_dwordx4 v30, v[2:5], s[10:11] offset:16
	global_store_dwordx4 v30, v[2:5], s[10:11] offset:32
	;; [unrolled: 1-line block ×3, first 2 shown]
	s_and_saveexec_b64 s[10:11], s[4:5]
	s_cbranch_execz .LBB6_2689
; %bb.2682:
	v_mov_b32_e32 v6, 0
	global_load_dwordx2 v[14:15], v6, s[6:7] offset:32 glc
	global_load_dwordx2 v[2:3], v6, s[6:7] offset:40
	v_mov_b32_e32 v12, s8
	v_mov_b32_e32 v13, s9
	s_waitcnt vmcnt(0)
	v_and_b32_e32 v2, s8, v2
	v_and_b32_e32 v3, s9, v3
	v_mul_lo_u32 v3, v3, 24
	v_mul_hi_u32 v4, v2, 24
	v_mul_lo_u32 v2, v2, 24
	v_add_u32_e32 v3, v4, v3
	v_add_co_u32_e32 v4, vcc, v0, v2
	v_addc_co_u32_e32 v5, vcc, v1, v3, vcc
	global_store_dwordx2 v[4:5], v[14:15], off
	buffer_wbl2
	s_waitcnt vmcnt(0)
	global_atomic_cmpswap_x2 v[2:3], v6, v[12:15], s[6:7] offset:32 glc
	s_waitcnt vmcnt(0)
	v_cmp_ne_u64_e32 vcc, v[2:3], v[14:15]
	s_and_saveexec_b64 s[12:13], vcc
	s_cbranch_execz .LBB6_2685
; %bb.2683:
	s_mov_b64 s[14:15], 0
.LBB6_2684:                             ; =>This Inner Loop Header: Depth=1
	s_sleep 1
	global_store_dwordx2 v[4:5], v[2:3], off
	v_mov_b32_e32 v0, s8
	v_mov_b32_e32 v1, s9
	buffer_wbl2
	s_waitcnt vmcnt(0)
	global_atomic_cmpswap_x2 v[0:1], v6, v[0:3], s[6:7] offset:32 glc
	s_waitcnt vmcnt(0)
	v_cmp_eq_u64_e32 vcc, v[0:1], v[2:3]
	s_or_b64 s[14:15], vcc, s[14:15]
	v_pk_mov_b32 v[2:3], v[0:1], v[0:1] op_sel:[0,1]
	s_andn2_b64 exec, exec, s[14:15]
	s_cbranch_execnz .LBB6_2684
.LBB6_2685:
	s_or_b64 exec, exec, s[12:13]
	v_mov_b32_e32 v3, 0
	global_load_dwordx2 v[0:1], v3, s[6:7] offset:16
	s_mov_b64 s[12:13], exec
	v_mbcnt_lo_u32_b32 v2, s12, 0
	v_mbcnt_hi_u32_b32 v2, s13, v2
	v_cmp_eq_u32_e32 vcc, 0, v2
	s_and_saveexec_b64 s[14:15], vcc
	s_cbranch_execz .LBB6_2687
; %bb.2686:
	s_bcnt1_i32_b64 s12, s[12:13]
	v_mov_b32_e32 v2, s12
	buffer_wbl2
	s_waitcnt vmcnt(0)
	global_atomic_add_x2 v[0:1], v[2:3], off offset:8
.LBB6_2687:
	s_or_b64 exec, exec, s[14:15]
	s_waitcnt vmcnt(0)
	global_load_dwordx2 v[2:3], v[0:1], off offset:16
	s_waitcnt vmcnt(0)
	v_cmp_eq_u64_e32 vcc, 0, v[2:3]
	s_cbranch_vccnz .LBB6_2689
; %bb.2688:
	global_load_dword v0, v[0:1], off offset:24
	v_mov_b32_e32 v1, 0
	buffer_wbl2
	s_waitcnt vmcnt(0)
	global_store_dwordx2 v[2:3], v[0:1], off
	v_and_b32_e32 v0, 0xffffff, v0
	v_readfirstlane_b32 m0, v0
	s_sendmsg sendmsg(MSG_INTERRUPT)
.LBB6_2689:
	s_or_b64 exec, exec, s[10:11]
	s_branch .LBB6_2691
.LBB6_2690:
	s_branch .LBB6_2695
.LBB6_2691:                             ; =>This Inner Loop Header: Depth=1
	v_mov_b32_e32 v0, 1
	s_and_saveexec_b64 s[10:11], s[4:5]
	s_cbranch_execz .LBB6_2693
; %bb.2692:                             ;   in Loop: Header=BB6_2691 Depth=1
	global_load_dword v0, v[8:9], off offset:20 glc
	s_waitcnt vmcnt(0)
	buffer_invl2
	buffer_wbinvl1_vol
	v_and_b32_e32 v0, 1, v0
.LBB6_2693:                             ;   in Loop: Header=BB6_2691 Depth=1
	s_or_b64 exec, exec, s[10:11]
	v_readfirstlane_b32 s10, v0
	s_cmp_eq_u32 s10, 0
	s_cbranch_scc1 .LBB6_2690
; %bb.2694:                             ;   in Loop: Header=BB6_2691 Depth=1
	s_sleep 1
	s_cbranch_execnz .LBB6_2691
.LBB6_2695:
	global_load_dwordx2 v[0:1], v[10:11], off
	s_and_saveexec_b64 s[10:11], s[4:5]
	s_cbranch_execz .LBB6_2698
; %bb.2696:
	v_mov_b32_e32 v8, 0
	global_load_dwordx2 v[6:7], v8, s[6:7] offset:40
	global_load_dwordx2 v[10:11], v8, s[6:7] offset:24 glc
	global_load_dwordx2 v[12:13], v8, s[6:7]
	v_mov_b32_e32 v3, s9
	s_mov_b64 s[4:5], 0
	s_waitcnt vmcnt(2)
	v_add_co_u32_e32 v5, vcc, 1, v6
	v_addc_co_u32_e32 v9, vcc, 0, v7, vcc
	v_add_co_u32_e32 v2, vcc, s8, v5
	v_addc_co_u32_e32 v3, vcc, v9, v3, vcc
	v_cmp_eq_u64_e32 vcc, 0, v[2:3]
	v_cndmask_b32_e32 v3, v3, v9, vcc
	v_cndmask_b32_e32 v2, v2, v5, vcc
	v_and_b32_e32 v5, v3, v7
	v_and_b32_e32 v6, v2, v6
	v_mul_lo_u32 v5, v5, 24
	v_mul_hi_u32 v7, v6, 24
	v_mul_lo_u32 v6, v6, 24
	v_add_u32_e32 v5, v7, v5
	s_waitcnt vmcnt(0)
	v_add_co_u32_e32 v6, vcc, v12, v6
	v_addc_co_u32_e32 v7, vcc, v13, v5, vcc
	v_mov_b32_e32 v4, v10
	global_store_dwordx2 v[6:7], v[10:11], off
	v_mov_b32_e32 v5, v11
	buffer_wbl2
	s_waitcnt vmcnt(0)
	global_atomic_cmpswap_x2 v[4:5], v8, v[2:5], s[6:7] offset:24 glc
	s_waitcnt vmcnt(0)
	v_cmp_ne_u64_e32 vcc, v[4:5], v[10:11]
	s_and_b64 exec, exec, vcc
	s_cbranch_execz .LBB6_2698
.LBB6_2697:                             ; =>This Inner Loop Header: Depth=1
	s_sleep 1
	global_store_dwordx2 v[6:7], v[4:5], off
	buffer_wbl2
	s_waitcnt vmcnt(0)
	global_atomic_cmpswap_x2 v[10:11], v8, v[2:5], s[6:7] offset:24 glc
	s_waitcnt vmcnt(0)
	v_cmp_eq_u64_e32 vcc, v[10:11], v[4:5]
	s_or_b64 s[4:5], vcc, s[4:5]
	v_pk_mov_b32 v[4:5], v[10:11], v[10:11] op_sel:[0,1]
	s_andn2_b64 exec, exec, s[4:5]
	s_cbranch_execnz .LBB6_2697
.LBB6_2698:
	s_or_b64 exec, exec, s[10:11]
	s_getpc_b64 s[8:9]
	s_add_u32 s8, s8, .str.28@rel32@lo+4
	s_addc_u32 s9, s9, .str.28@rel32@hi+12
	s_cmp_lg_u64 s[8:9], 0
	s_cbranch_scc0 .LBB6_2790
; %bb.2699:
	s_waitcnt vmcnt(0)
	v_and_b32_e32 v6, -3, v0
	v_mov_b32_e32 v7, v1
	s_mov_b64 s[10:11], 35
	v_mov_b32_e32 v27, 0
	v_mov_b32_e32 v4, 2
	;; [unrolled: 1-line block ×3, first 2 shown]
	s_branch .LBB6_2701
.LBB6_2700:                             ;   in Loop: Header=BB6_2701 Depth=1
	s_or_b64 exec, exec, s[16:17]
	s_sub_u32 s10, s10, s12
	s_subb_u32 s11, s11, s13
	s_add_u32 s8, s8, s12
	s_addc_u32 s9, s9, s13
	s_cmp_lg_u64 s[10:11], 0
	s_cbranch_scc0 .LBB6_2789
.LBB6_2701:                             ; =>This Loop Header: Depth=1
                                        ;     Child Loop BB6_2704 Depth 2
                                        ;     Child Loop BB6_2712 Depth 2
	;; [unrolled: 1-line block ×11, first 2 shown]
	v_cmp_lt_u64_e64 s[4:5], s[10:11], 56
	s_and_b64 s[4:5], s[4:5], exec
	v_cmp_gt_u64_e64 s[4:5], s[10:11], 7
	s_cselect_b32 s13, s11, 0
	s_cselect_b32 s12, s10, 56
	s_and_b64 vcc, exec, s[4:5]
	s_cbranch_vccnz .LBB6_2706
; %bb.2702:                             ;   in Loop: Header=BB6_2701 Depth=1
	s_mov_b64 s[4:5], 0
	s_cmp_eq_u64 s[10:11], 0
	s_waitcnt vmcnt(0)
	v_pk_mov_b32 v[8:9], 0, 0
	s_cbranch_scc1 .LBB6_2705
; %bb.2703:                             ;   in Loop: Header=BB6_2701 Depth=1
	s_lshl_b64 s[14:15], s[12:13], 3
	s_mov_b64 s[16:17], 0
	v_pk_mov_b32 v[8:9], 0, 0
	s_mov_b64 s[18:19], s[8:9]
.LBB6_2704:                             ;   Parent Loop BB6_2701 Depth=1
                                        ; =>  This Inner Loop Header: Depth=2
	global_load_ubyte v2, v27, s[18:19]
	s_waitcnt vmcnt(0)
	v_and_b32_e32 v26, 0xffff, v2
	v_lshlrev_b64 v[2:3], s16, v[26:27]
	s_add_u32 s16, s16, 8
	s_addc_u32 s17, s17, 0
	s_add_u32 s18, s18, 1
	s_addc_u32 s19, s19, 0
	v_or_b32_e32 v8, v2, v8
	s_cmp_lg_u32 s14, s16
	v_or_b32_e32 v9, v3, v9
	s_cbranch_scc1 .LBB6_2704
.LBB6_2705:                             ;   in Loop: Header=BB6_2701 Depth=1
	s_mov_b32 s18, 0
	s_branch .LBB6_2707
.LBB6_2706:                             ;   in Loop: Header=BB6_2701 Depth=1
	s_mov_b64 s[4:5], -1
                                        ; implicit-def: $sgpr18
.LBB6_2707:                             ;   in Loop: Header=BB6_2701 Depth=1
	s_andn2_b64 vcc, exec, s[4:5]
	s_mov_b64 s[4:5], s[8:9]
	s_cbranch_vccnz .LBB6_2709
; %bb.2708:                             ;   in Loop: Header=BB6_2701 Depth=1
	global_load_dwordx2 v[8:9], v27, s[8:9]
	s_add_i32 s18, s12, -8
	s_add_u32 s4, s8, 8
	s_addc_u32 s5, s9, 0
.LBB6_2709:                             ;   in Loop: Header=BB6_2701 Depth=1
	s_cmp_gt_u32 s18, 7
	s_cbranch_scc1 .LBB6_2713
; %bb.2710:                             ;   in Loop: Header=BB6_2701 Depth=1
	s_cmp_eq_u32 s18, 0
	s_cbranch_scc1 .LBB6_2714
; %bb.2711:                             ;   in Loop: Header=BB6_2701 Depth=1
	s_mov_b64 s[14:15], 0
	v_pk_mov_b32 v[10:11], 0, 0
	s_mov_b64 s[16:17], 0
.LBB6_2712:                             ;   Parent Loop BB6_2701 Depth=1
                                        ; =>  This Inner Loop Header: Depth=2
	s_add_u32 s20, s4, s16
	s_addc_u32 s21, s5, s17
	global_load_ubyte v2, v27, s[20:21]
	s_add_u32 s16, s16, 1
	s_addc_u32 s17, s17, 0
	s_waitcnt vmcnt(0)
	v_and_b32_e32 v26, 0xffff, v2
	v_lshlrev_b64 v[2:3], s14, v[26:27]
	s_add_u32 s14, s14, 8
	s_addc_u32 s15, s15, 0
	v_or_b32_e32 v10, v2, v10
	s_cmp_lg_u32 s18, s16
	v_or_b32_e32 v11, v3, v11
	s_cbranch_scc1 .LBB6_2712
	s_branch .LBB6_2715
.LBB6_2713:                             ;   in Loop: Header=BB6_2701 Depth=1
	s_mov_b64 s[14:15], -1
                                        ; implicit-def: $vgpr10_vgpr11
                                        ; implicit-def: $sgpr19
	s_branch .LBB6_2716
.LBB6_2714:                             ;   in Loop: Header=BB6_2701 Depth=1
	v_pk_mov_b32 v[10:11], 0, 0
.LBB6_2715:                             ;   in Loop: Header=BB6_2701 Depth=1
	s_mov_b64 s[14:15], 0
	s_mov_b32 s19, 0
.LBB6_2716:                             ;   in Loop: Header=BB6_2701 Depth=1
	s_andn2_b64 vcc, exec, s[14:15]
	s_cbranch_vccnz .LBB6_2718
; %bb.2717:                             ;   in Loop: Header=BB6_2701 Depth=1
	global_load_dwordx2 v[10:11], v27, s[4:5]
	s_add_i32 s19, s18, -8
	s_add_u32 s4, s4, 8
	s_addc_u32 s5, s5, 0
.LBB6_2718:                             ;   in Loop: Header=BB6_2701 Depth=1
	s_cmp_gt_u32 s19, 7
	s_cbranch_scc1 .LBB6_2722
; %bb.2719:                             ;   in Loop: Header=BB6_2701 Depth=1
	s_cmp_eq_u32 s19, 0
	s_cbranch_scc1 .LBB6_2723
; %bb.2720:                             ;   in Loop: Header=BB6_2701 Depth=1
	s_mov_b64 s[14:15], 0
	v_pk_mov_b32 v[12:13], 0, 0
	s_mov_b64 s[16:17], 0
.LBB6_2721:                             ;   Parent Loop BB6_2701 Depth=1
                                        ; =>  This Inner Loop Header: Depth=2
	s_add_u32 s20, s4, s16
	s_addc_u32 s21, s5, s17
	global_load_ubyte v2, v27, s[20:21]
	s_add_u32 s16, s16, 1
	s_addc_u32 s17, s17, 0
	s_waitcnt vmcnt(0)
	v_and_b32_e32 v26, 0xffff, v2
	v_lshlrev_b64 v[2:3], s14, v[26:27]
	s_add_u32 s14, s14, 8
	s_addc_u32 s15, s15, 0
	v_or_b32_e32 v12, v2, v12
	s_cmp_lg_u32 s19, s16
	v_or_b32_e32 v13, v3, v13
	s_cbranch_scc1 .LBB6_2721
	s_branch .LBB6_2724
.LBB6_2722:                             ;   in Loop: Header=BB6_2701 Depth=1
	s_mov_b64 s[14:15], -1
                                        ; implicit-def: $sgpr18
	s_branch .LBB6_2725
.LBB6_2723:                             ;   in Loop: Header=BB6_2701 Depth=1
	v_pk_mov_b32 v[12:13], 0, 0
.LBB6_2724:                             ;   in Loop: Header=BB6_2701 Depth=1
	s_mov_b64 s[14:15], 0
	s_mov_b32 s18, 0
.LBB6_2725:                             ;   in Loop: Header=BB6_2701 Depth=1
	s_andn2_b64 vcc, exec, s[14:15]
	s_cbranch_vccnz .LBB6_2727
; %bb.2726:                             ;   in Loop: Header=BB6_2701 Depth=1
	global_load_dwordx2 v[12:13], v27, s[4:5]
	s_add_i32 s18, s19, -8
	s_add_u32 s4, s4, 8
	s_addc_u32 s5, s5, 0
.LBB6_2727:                             ;   in Loop: Header=BB6_2701 Depth=1
	s_cmp_gt_u32 s18, 7
	s_cbranch_scc1 .LBB6_2731
; %bb.2728:                             ;   in Loop: Header=BB6_2701 Depth=1
	s_cmp_eq_u32 s18, 0
	s_cbranch_scc1 .LBB6_2732
; %bb.2729:                             ;   in Loop: Header=BB6_2701 Depth=1
	s_mov_b64 s[14:15], 0
	v_pk_mov_b32 v[14:15], 0, 0
	s_mov_b64 s[16:17], 0
.LBB6_2730:                             ;   Parent Loop BB6_2701 Depth=1
                                        ; =>  This Inner Loop Header: Depth=2
	s_add_u32 s20, s4, s16
	s_addc_u32 s21, s5, s17
	global_load_ubyte v2, v27, s[20:21]
	s_add_u32 s16, s16, 1
	s_addc_u32 s17, s17, 0
	s_waitcnt vmcnt(0)
	v_and_b32_e32 v26, 0xffff, v2
	v_lshlrev_b64 v[2:3], s14, v[26:27]
	s_add_u32 s14, s14, 8
	s_addc_u32 s15, s15, 0
	v_or_b32_e32 v14, v2, v14
	s_cmp_lg_u32 s18, s16
	v_or_b32_e32 v15, v3, v15
	s_cbranch_scc1 .LBB6_2730
	s_branch .LBB6_2733
.LBB6_2731:                             ;   in Loop: Header=BB6_2701 Depth=1
	s_mov_b64 s[14:15], -1
                                        ; implicit-def: $vgpr14_vgpr15
                                        ; implicit-def: $sgpr19
	s_branch .LBB6_2734
.LBB6_2732:                             ;   in Loop: Header=BB6_2701 Depth=1
	v_pk_mov_b32 v[14:15], 0, 0
.LBB6_2733:                             ;   in Loop: Header=BB6_2701 Depth=1
	s_mov_b64 s[14:15], 0
	s_mov_b32 s19, 0
.LBB6_2734:                             ;   in Loop: Header=BB6_2701 Depth=1
	s_andn2_b64 vcc, exec, s[14:15]
	s_cbranch_vccnz .LBB6_2736
; %bb.2735:                             ;   in Loop: Header=BB6_2701 Depth=1
	global_load_dwordx2 v[14:15], v27, s[4:5]
	s_add_i32 s19, s18, -8
	s_add_u32 s4, s4, 8
	s_addc_u32 s5, s5, 0
.LBB6_2736:                             ;   in Loop: Header=BB6_2701 Depth=1
	s_cmp_gt_u32 s19, 7
	s_cbranch_scc1 .LBB6_2740
; %bb.2737:                             ;   in Loop: Header=BB6_2701 Depth=1
	s_cmp_eq_u32 s19, 0
	s_cbranch_scc1 .LBB6_2741
; %bb.2738:                             ;   in Loop: Header=BB6_2701 Depth=1
	s_mov_b64 s[14:15], 0
	v_pk_mov_b32 v[16:17], 0, 0
	s_mov_b64 s[16:17], 0
.LBB6_2739:                             ;   Parent Loop BB6_2701 Depth=1
                                        ; =>  This Inner Loop Header: Depth=2
	s_add_u32 s20, s4, s16
	s_addc_u32 s21, s5, s17
	global_load_ubyte v2, v27, s[20:21]
	s_add_u32 s16, s16, 1
	s_addc_u32 s17, s17, 0
	s_waitcnt vmcnt(0)
	v_and_b32_e32 v26, 0xffff, v2
	v_lshlrev_b64 v[2:3], s14, v[26:27]
	s_add_u32 s14, s14, 8
	s_addc_u32 s15, s15, 0
	v_or_b32_e32 v16, v2, v16
	s_cmp_lg_u32 s19, s16
	v_or_b32_e32 v17, v3, v17
	s_cbranch_scc1 .LBB6_2739
	s_branch .LBB6_2742
.LBB6_2740:                             ;   in Loop: Header=BB6_2701 Depth=1
	s_mov_b64 s[14:15], -1
                                        ; implicit-def: $sgpr18
	s_branch .LBB6_2743
.LBB6_2741:                             ;   in Loop: Header=BB6_2701 Depth=1
	v_pk_mov_b32 v[16:17], 0, 0
.LBB6_2742:                             ;   in Loop: Header=BB6_2701 Depth=1
	s_mov_b64 s[14:15], 0
	s_mov_b32 s18, 0
.LBB6_2743:                             ;   in Loop: Header=BB6_2701 Depth=1
	s_andn2_b64 vcc, exec, s[14:15]
	s_cbranch_vccnz .LBB6_2745
; %bb.2744:                             ;   in Loop: Header=BB6_2701 Depth=1
	global_load_dwordx2 v[16:17], v27, s[4:5]
	s_add_i32 s18, s19, -8
	s_add_u32 s4, s4, 8
	s_addc_u32 s5, s5, 0
.LBB6_2745:                             ;   in Loop: Header=BB6_2701 Depth=1
	s_cmp_gt_u32 s18, 7
	s_cbranch_scc1 .LBB6_2749
; %bb.2746:                             ;   in Loop: Header=BB6_2701 Depth=1
	s_cmp_eq_u32 s18, 0
	s_cbranch_scc1 .LBB6_2750
; %bb.2747:                             ;   in Loop: Header=BB6_2701 Depth=1
	s_mov_b64 s[14:15], 0
	v_pk_mov_b32 v[18:19], 0, 0
	s_mov_b64 s[16:17], 0
.LBB6_2748:                             ;   Parent Loop BB6_2701 Depth=1
                                        ; =>  This Inner Loop Header: Depth=2
	s_add_u32 s20, s4, s16
	s_addc_u32 s21, s5, s17
	global_load_ubyte v2, v27, s[20:21]
	s_add_u32 s16, s16, 1
	s_addc_u32 s17, s17, 0
	s_waitcnt vmcnt(0)
	v_and_b32_e32 v26, 0xffff, v2
	v_lshlrev_b64 v[2:3], s14, v[26:27]
	s_add_u32 s14, s14, 8
	s_addc_u32 s15, s15, 0
	v_or_b32_e32 v18, v2, v18
	s_cmp_lg_u32 s18, s16
	v_or_b32_e32 v19, v3, v19
	s_cbranch_scc1 .LBB6_2748
	s_branch .LBB6_2751
.LBB6_2749:                             ;   in Loop: Header=BB6_2701 Depth=1
	s_mov_b64 s[14:15], -1
                                        ; implicit-def: $vgpr18_vgpr19
                                        ; implicit-def: $sgpr19
	s_branch .LBB6_2752
.LBB6_2750:                             ;   in Loop: Header=BB6_2701 Depth=1
	v_pk_mov_b32 v[18:19], 0, 0
.LBB6_2751:                             ;   in Loop: Header=BB6_2701 Depth=1
	s_mov_b64 s[14:15], 0
	s_mov_b32 s19, 0
.LBB6_2752:                             ;   in Loop: Header=BB6_2701 Depth=1
	s_andn2_b64 vcc, exec, s[14:15]
	s_cbranch_vccnz .LBB6_2754
; %bb.2753:                             ;   in Loop: Header=BB6_2701 Depth=1
	global_load_dwordx2 v[18:19], v27, s[4:5]
	s_add_i32 s19, s18, -8
	s_add_u32 s4, s4, 8
	s_addc_u32 s5, s5, 0
.LBB6_2754:                             ;   in Loop: Header=BB6_2701 Depth=1
	s_cmp_gt_u32 s19, 7
	s_cbranch_scc1 .LBB6_2758
; %bb.2755:                             ;   in Loop: Header=BB6_2701 Depth=1
	s_cmp_eq_u32 s19, 0
	s_cbranch_scc1 .LBB6_2759
; %bb.2756:                             ;   in Loop: Header=BB6_2701 Depth=1
	s_mov_b64 s[14:15], 0
	v_pk_mov_b32 v[20:21], 0, 0
	s_mov_b64 s[16:17], s[4:5]
.LBB6_2757:                             ;   Parent Loop BB6_2701 Depth=1
                                        ; =>  This Inner Loop Header: Depth=2
	global_load_ubyte v2, v27, s[16:17]
	s_add_i32 s19, s19, -1
	s_waitcnt vmcnt(0)
	v_and_b32_e32 v26, 0xffff, v2
	v_lshlrev_b64 v[2:3], s14, v[26:27]
	s_add_u32 s14, s14, 8
	s_addc_u32 s15, s15, 0
	s_add_u32 s16, s16, 1
	s_addc_u32 s17, s17, 0
	v_or_b32_e32 v20, v2, v20
	s_cmp_lg_u32 s19, 0
	v_or_b32_e32 v21, v3, v21
	s_cbranch_scc1 .LBB6_2757
	s_branch .LBB6_2760
.LBB6_2758:                             ;   in Loop: Header=BB6_2701 Depth=1
	s_mov_b64 s[14:15], -1
	s_branch .LBB6_2761
.LBB6_2759:                             ;   in Loop: Header=BB6_2701 Depth=1
	v_pk_mov_b32 v[20:21], 0, 0
.LBB6_2760:                             ;   in Loop: Header=BB6_2701 Depth=1
	s_mov_b64 s[14:15], 0
.LBB6_2761:                             ;   in Loop: Header=BB6_2701 Depth=1
	s_andn2_b64 vcc, exec, s[14:15]
	s_cbranch_vccnz .LBB6_2763
; %bb.2762:                             ;   in Loop: Header=BB6_2701 Depth=1
	global_load_dwordx2 v[20:21], v27, s[4:5]
.LBB6_2763:                             ;   in Loop: Header=BB6_2701 Depth=1
	v_readfirstlane_b32 s4, v31
	v_cmp_eq_u32_e64 s[4:5], s4, v31
	v_pk_mov_b32 v[2:3], 0, 0
	s_and_saveexec_b64 s[14:15], s[4:5]
	s_cbranch_execz .LBB6_2769
; %bb.2764:                             ;   in Loop: Header=BB6_2701 Depth=1
	global_load_dwordx2 v[24:25], v27, s[6:7] offset:24 glc
	s_waitcnt vmcnt(0)
	buffer_invl2
	buffer_wbinvl1_vol
	global_load_dwordx2 v[2:3], v27, s[6:7] offset:40
	global_load_dwordx2 v[22:23], v27, s[6:7]
	s_waitcnt vmcnt(1)
	v_and_b32_e32 v2, v2, v24
	v_and_b32_e32 v3, v3, v25
	v_mul_lo_u32 v3, v3, 24
	v_mul_hi_u32 v26, v2, 24
	v_mul_lo_u32 v2, v2, 24
	v_add_u32_e32 v3, v26, v3
	s_waitcnt vmcnt(0)
	v_add_co_u32_e32 v2, vcc, v22, v2
	v_addc_co_u32_e32 v3, vcc, v23, v3, vcc
	global_load_dwordx2 v[22:23], v[2:3], off glc
	s_waitcnt vmcnt(0)
	global_atomic_cmpswap_x2 v[2:3], v27, v[22:25], s[6:7] offset:24 glc
	s_waitcnt vmcnt(0)
	buffer_invl2
	buffer_wbinvl1_vol
	v_cmp_ne_u64_e32 vcc, v[2:3], v[24:25]
	s_and_saveexec_b64 s[16:17], vcc
	s_cbranch_execz .LBB6_2768
; %bb.2765:                             ;   in Loop: Header=BB6_2701 Depth=1
	s_mov_b64 s[18:19], 0
.LBB6_2766:                             ;   Parent Loop BB6_2701 Depth=1
                                        ; =>  This Inner Loop Header: Depth=2
	s_sleep 1
	global_load_dwordx2 v[22:23], v27, s[6:7] offset:40
	global_load_dwordx2 v[28:29], v27, s[6:7]
	v_pk_mov_b32 v[24:25], v[2:3], v[2:3] op_sel:[0,1]
	s_waitcnt vmcnt(1)
	v_and_b32_e32 v2, v22, v24
	s_waitcnt vmcnt(0)
	v_mad_u64_u32 v[2:3], s[20:21], v2, 24, v[28:29]
	v_and_b32_e32 v23, v23, v25
	v_mov_b32_e32 v22, v3
	v_mad_u64_u32 v[22:23], s[20:21], v23, 24, v[22:23]
	v_mov_b32_e32 v3, v22
	global_load_dwordx2 v[22:23], v[2:3], off glc
	s_waitcnt vmcnt(0)
	global_atomic_cmpswap_x2 v[2:3], v27, v[22:25], s[6:7] offset:24 glc
	s_waitcnt vmcnt(0)
	buffer_invl2
	buffer_wbinvl1_vol
	v_cmp_eq_u64_e32 vcc, v[2:3], v[24:25]
	s_or_b64 s[18:19], vcc, s[18:19]
	s_andn2_b64 exec, exec, s[18:19]
	s_cbranch_execnz .LBB6_2766
; %bb.2767:                             ;   in Loop: Header=BB6_2701 Depth=1
	s_or_b64 exec, exec, s[18:19]
.LBB6_2768:                             ;   in Loop: Header=BB6_2701 Depth=1
	s_or_b64 exec, exec, s[16:17]
.LBB6_2769:                             ;   in Loop: Header=BB6_2701 Depth=1
	s_or_b64 exec, exec, s[14:15]
	global_load_dwordx2 v[28:29], v27, s[6:7] offset:40
	global_load_dwordx4 v[22:25], v27, s[6:7]
	v_readfirstlane_b32 s14, v2
	v_readfirstlane_b32 s15, v3
	s_mov_b64 s[16:17], exec
	s_waitcnt vmcnt(1)
	v_readfirstlane_b32 s18, v28
	v_readfirstlane_b32 s19, v29
	s_and_b64 s[18:19], s[14:15], s[18:19]
	s_mul_i32 s20, s19, 24
	s_mul_hi_u32 s21, s18, 24
	s_mul_i32 s22, s18, 24
	s_add_i32 s20, s21, s20
	v_mov_b32_e32 v2, s20
	s_waitcnt vmcnt(0)
	v_add_co_u32_e32 v28, vcc, s22, v22
	v_addc_co_u32_e32 v29, vcc, v23, v2, vcc
	s_and_saveexec_b64 s[20:21], s[4:5]
	s_cbranch_execz .LBB6_2771
; %bb.2770:                             ;   in Loop: Header=BB6_2701 Depth=1
	v_pk_mov_b32 v[2:3], s[16:17], s[16:17] op_sel:[0,1]
	global_store_dwordx4 v[28:29], v[2:5], off offset:8
.LBB6_2771:                             ;   in Loop: Header=BB6_2701 Depth=1
	s_or_b64 exec, exec, s[20:21]
	s_lshl_b64 s[16:17], s[18:19], 12
	v_mov_b32_e32 v3, s17
	v_add_co_u32_e32 v2, vcc, s16, v24
	v_addc_co_u32_e32 v3, vcc, v25, v3, vcc
	v_or_b32_e32 v24, 2, v6
	v_cmp_gt_u64_e64 vcc, s[10:11], 56
	s_lshl_b32 s16, s12, 2
	v_cndmask_b32_e32 v6, v24, v6, vcc
	s_add_i32 s16, s16, 28
	s_and_b32 s16, s16, 0x1e0
	v_and_b32_e32 v6, 0xffffff1f, v6
	v_or_b32_e32 v6, s16, v6
	v_readfirstlane_b32 s16, v2
	v_readfirstlane_b32 s17, v3
	s_nop 4
	global_store_dwordx4 v30, v[6:9], s[16:17]
	global_store_dwordx4 v30, v[10:13], s[16:17] offset:16
	global_store_dwordx4 v30, v[14:17], s[16:17] offset:32
	global_store_dwordx4 v30, v[18:21], s[16:17] offset:48
	s_and_saveexec_b64 s[16:17], s[4:5]
	s_cbranch_execz .LBB6_2779
; %bb.2772:                             ;   in Loop: Header=BB6_2701 Depth=1
	global_load_dwordx2 v[14:15], v27, s[6:7] offset:32 glc
	global_load_dwordx2 v[6:7], v27, s[6:7] offset:40
	v_mov_b32_e32 v12, s14
	v_mov_b32_e32 v13, s15
	s_waitcnt vmcnt(0)
	v_readfirstlane_b32 s18, v6
	v_readfirstlane_b32 s19, v7
	s_and_b64 s[18:19], s[18:19], s[14:15]
	s_mul_i32 s19, s19, 24
	s_mul_hi_u32 s20, s18, 24
	s_mul_i32 s18, s18, 24
	s_add_i32 s19, s20, s19
	v_mov_b32_e32 v6, s19
	v_add_co_u32_e32 v10, vcc, s18, v22
	v_addc_co_u32_e32 v11, vcc, v23, v6, vcc
	global_store_dwordx2 v[10:11], v[14:15], off
	buffer_wbl2
	s_waitcnt vmcnt(0)
	global_atomic_cmpswap_x2 v[8:9], v27, v[12:15], s[6:7] offset:32 glc
	s_waitcnt vmcnt(0)
	v_cmp_ne_u64_e32 vcc, v[8:9], v[14:15]
	s_and_saveexec_b64 s[18:19], vcc
	s_cbranch_execz .LBB6_2775
; %bb.2773:                             ;   in Loop: Header=BB6_2701 Depth=1
	s_mov_b64 s[20:21], 0
.LBB6_2774:                             ;   Parent Loop BB6_2701 Depth=1
                                        ; =>  This Inner Loop Header: Depth=2
	s_sleep 1
	global_store_dwordx2 v[10:11], v[8:9], off
	v_mov_b32_e32 v6, s14
	v_mov_b32_e32 v7, s15
	buffer_wbl2
	s_waitcnt vmcnt(0)
	global_atomic_cmpswap_x2 v[6:7], v27, v[6:9], s[6:7] offset:32 glc
	s_waitcnt vmcnt(0)
	v_cmp_eq_u64_e32 vcc, v[6:7], v[8:9]
	s_or_b64 s[20:21], vcc, s[20:21]
	v_pk_mov_b32 v[8:9], v[6:7], v[6:7] op_sel:[0,1]
	s_andn2_b64 exec, exec, s[20:21]
	s_cbranch_execnz .LBB6_2774
.LBB6_2775:                             ;   in Loop: Header=BB6_2701 Depth=1
	s_or_b64 exec, exec, s[18:19]
	global_load_dwordx2 v[6:7], v27, s[6:7] offset:16
	s_mov_b64 s[20:21], exec
	v_mbcnt_lo_u32_b32 v8, s20, 0
	v_mbcnt_hi_u32_b32 v8, s21, v8
	v_cmp_eq_u32_e32 vcc, 0, v8
	s_and_saveexec_b64 s[18:19], vcc
	s_cbranch_execz .LBB6_2777
; %bb.2776:                             ;   in Loop: Header=BB6_2701 Depth=1
	s_bcnt1_i32_b64 s20, s[20:21]
	v_mov_b32_e32 v26, s20
	buffer_wbl2
	s_waitcnt vmcnt(0)
	global_atomic_add_x2 v[6:7], v[26:27], off offset:8
.LBB6_2777:                             ;   in Loop: Header=BB6_2701 Depth=1
	s_or_b64 exec, exec, s[18:19]
	s_waitcnt vmcnt(0)
	global_load_dwordx2 v[8:9], v[6:7], off offset:16
	s_waitcnt vmcnt(0)
	v_cmp_eq_u64_e32 vcc, 0, v[8:9]
	s_cbranch_vccnz .LBB6_2779
; %bb.2778:                             ;   in Loop: Header=BB6_2701 Depth=1
	global_load_dword v26, v[6:7], off offset:24
	s_waitcnt vmcnt(0)
	v_and_b32_e32 v6, 0xffffff, v26
	v_readfirstlane_b32 m0, v6
	buffer_wbl2
	global_store_dwordx2 v[8:9], v[26:27], off
	s_sendmsg sendmsg(MSG_INTERRUPT)
.LBB6_2779:                             ;   in Loop: Header=BB6_2701 Depth=1
	s_or_b64 exec, exec, s[16:17]
	v_add_co_u32_e32 v2, vcc, v2, v30
	v_addc_co_u32_e32 v3, vcc, 0, v3, vcc
	s_branch .LBB6_2781
.LBB6_2780:                             ;   in Loop: Header=BB6_2701 Depth=1
	s_branch .LBB6_2785
.LBB6_2781:                             ;   Parent Loop BB6_2701 Depth=1
                                        ; =>  This Inner Loop Header: Depth=2
	v_mov_b32_e32 v6, 1
	s_and_saveexec_b64 s[16:17], s[4:5]
	s_cbranch_execz .LBB6_2783
; %bb.2782:                             ;   in Loop: Header=BB6_2781 Depth=2
	global_load_dword v6, v[28:29], off offset:20 glc
	s_waitcnt vmcnt(0)
	buffer_invl2
	buffer_wbinvl1_vol
	v_and_b32_e32 v6, 1, v6
.LBB6_2783:                             ;   in Loop: Header=BB6_2781 Depth=2
	s_or_b64 exec, exec, s[16:17]
	v_readfirstlane_b32 s16, v6
	s_cmp_eq_u32 s16, 0
	s_cbranch_scc1 .LBB6_2780
; %bb.2784:                             ;   in Loop: Header=BB6_2781 Depth=2
	s_sleep 1
	s_cbranch_execnz .LBB6_2781
.LBB6_2785:                             ;   in Loop: Header=BB6_2701 Depth=1
	global_load_dwordx4 v[6:9], v[2:3], off
	s_and_saveexec_b64 s[16:17], s[4:5]
	s_cbranch_execz .LBB6_2700
; %bb.2786:                             ;   in Loop: Header=BB6_2701 Depth=1
	global_load_dwordx2 v[2:3], v27, s[6:7] offset:40
	global_load_dwordx2 v[12:13], v27, s[6:7] offset:24 glc
	global_load_dwordx2 v[14:15], v27, s[6:7]
	s_waitcnt vmcnt(3)
	v_mov_b32_e32 v9, s15
	s_waitcnt vmcnt(2)
	v_add_co_u32_e32 v11, vcc, 1, v2
	v_addc_co_u32_e32 v16, vcc, 0, v3, vcc
	v_add_co_u32_e32 v8, vcc, s14, v11
	v_addc_co_u32_e32 v9, vcc, v16, v9, vcc
	v_cmp_eq_u64_e32 vcc, 0, v[8:9]
	v_cndmask_b32_e32 v9, v9, v16, vcc
	v_cndmask_b32_e32 v8, v8, v11, vcc
	v_and_b32_e32 v3, v9, v3
	v_and_b32_e32 v2, v8, v2
	v_mul_lo_u32 v3, v3, 24
	v_mul_hi_u32 v11, v2, 24
	v_mul_lo_u32 v2, v2, 24
	v_add_u32_e32 v3, v11, v3
	s_waitcnt vmcnt(0)
	v_add_co_u32_e32 v2, vcc, v14, v2
	v_addc_co_u32_e32 v3, vcc, v15, v3, vcc
	v_mov_b32_e32 v10, v12
	global_store_dwordx2 v[2:3], v[12:13], off
	v_mov_b32_e32 v11, v13
	buffer_wbl2
	s_waitcnt vmcnt(0)
	global_atomic_cmpswap_x2 v[10:11], v27, v[8:11], s[6:7] offset:24 glc
	s_waitcnt vmcnt(0)
	v_cmp_ne_u64_e32 vcc, v[10:11], v[12:13]
	s_and_b64 exec, exec, vcc
	s_cbranch_execz .LBB6_2700
; %bb.2787:                             ;   in Loop: Header=BB6_2701 Depth=1
	s_mov_b64 s[4:5], 0
.LBB6_2788:                             ;   Parent Loop BB6_2701 Depth=1
                                        ; =>  This Inner Loop Header: Depth=2
	s_sleep 1
	global_store_dwordx2 v[2:3], v[10:11], off
	buffer_wbl2
	s_waitcnt vmcnt(0)
	global_atomic_cmpswap_x2 v[12:13], v27, v[8:11], s[6:7] offset:24 glc
	s_waitcnt vmcnt(0)
	v_cmp_eq_u64_e32 vcc, v[12:13], v[10:11]
	s_or_b64 s[4:5], vcc, s[4:5]
	v_pk_mov_b32 v[10:11], v[12:13], v[12:13] op_sel:[0,1]
	s_andn2_b64 exec, exec, s[4:5]
	s_cbranch_execnz .LBB6_2788
	s_branch .LBB6_2700
.LBB6_2789:
	s_mov_b64 s[4:5], 0
	s_branch .LBB6_2791
.LBB6_2790:
	s_mov_b64 s[4:5], -1
.LBB6_2791:
	s_and_b64 vcc, exec, s[4:5]
	s_cbranch_vccz .LBB6_2818
; %bb.2792:
	v_readfirstlane_b32 s4, v31
	v_cmp_eq_u32_e64 s[4:5], s4, v31
	s_waitcnt vmcnt(0)
	v_pk_mov_b32 v[8:9], 0, 0
	s_and_saveexec_b64 s[8:9], s[4:5]
	s_cbranch_execz .LBB6_2798
; %bb.2793:
	v_mov_b32_e32 v2, 0
	global_load_dwordx2 v[6:7], v2, s[6:7] offset:24 glc
	s_waitcnt vmcnt(0)
	buffer_invl2
	buffer_wbinvl1_vol
	global_load_dwordx2 v[4:5], v2, s[6:7] offset:40
	global_load_dwordx2 v[8:9], v2, s[6:7]
	s_waitcnt vmcnt(1)
	v_and_b32_e32 v3, v4, v6
	v_and_b32_e32 v4, v5, v7
	v_mul_lo_u32 v4, v4, 24
	v_mul_hi_u32 v5, v3, 24
	v_mul_lo_u32 v3, v3, 24
	v_add_u32_e32 v5, v5, v4
	s_waitcnt vmcnt(0)
	v_add_co_u32_e32 v4, vcc, v8, v3
	v_addc_co_u32_e32 v5, vcc, v9, v5, vcc
	global_load_dwordx2 v[4:5], v[4:5], off glc
	s_waitcnt vmcnt(0)
	global_atomic_cmpswap_x2 v[8:9], v2, v[4:7], s[6:7] offset:24 glc
	s_waitcnt vmcnt(0)
	buffer_invl2
	buffer_wbinvl1_vol
	v_cmp_ne_u64_e32 vcc, v[8:9], v[6:7]
	s_and_saveexec_b64 s[10:11], vcc
	s_cbranch_execz .LBB6_2797
; %bb.2794:
	s_mov_b64 s[12:13], 0
.LBB6_2795:                             ; =>This Inner Loop Header: Depth=1
	s_sleep 1
	global_load_dwordx2 v[4:5], v2, s[6:7] offset:40
	global_load_dwordx2 v[10:11], v2, s[6:7]
	v_pk_mov_b32 v[6:7], v[8:9], v[8:9] op_sel:[0,1]
	s_waitcnt vmcnt(1)
	v_and_b32_e32 v4, v4, v6
	v_and_b32_e32 v3, v5, v7
	s_waitcnt vmcnt(0)
	v_mad_u64_u32 v[4:5], s[14:15], v4, 24, v[10:11]
	v_mov_b32_e32 v8, v5
	v_mad_u64_u32 v[8:9], s[14:15], v3, 24, v[8:9]
	v_mov_b32_e32 v5, v8
	global_load_dwordx2 v[4:5], v[4:5], off glc
	s_waitcnt vmcnt(0)
	global_atomic_cmpswap_x2 v[8:9], v2, v[4:7], s[6:7] offset:24 glc
	s_waitcnt vmcnt(0)
	buffer_invl2
	buffer_wbinvl1_vol
	v_cmp_eq_u64_e32 vcc, v[8:9], v[6:7]
	s_or_b64 s[12:13], vcc, s[12:13]
	s_andn2_b64 exec, exec, s[12:13]
	s_cbranch_execnz .LBB6_2795
; %bb.2796:
	s_or_b64 exec, exec, s[12:13]
.LBB6_2797:
	s_or_b64 exec, exec, s[10:11]
.LBB6_2798:
	s_or_b64 exec, exec, s[8:9]
	v_mov_b32_e32 v2, 0
	global_load_dwordx2 v[10:11], v2, s[6:7] offset:40
	global_load_dwordx4 v[4:7], v2, s[6:7]
	v_readfirstlane_b32 s8, v8
	v_readfirstlane_b32 s9, v9
	s_mov_b64 s[10:11], exec
	s_waitcnt vmcnt(1)
	v_readfirstlane_b32 s12, v10
	v_readfirstlane_b32 s13, v11
	s_and_b64 s[12:13], s[8:9], s[12:13]
	s_mul_i32 s14, s13, 24
	s_mul_hi_u32 s15, s12, 24
	s_mul_i32 s16, s12, 24
	s_add_i32 s14, s15, s14
	v_mov_b32_e32 v3, s14
	s_waitcnt vmcnt(0)
	v_add_co_u32_e32 v8, vcc, s16, v4
	v_addc_co_u32_e32 v9, vcc, v5, v3, vcc
	s_and_saveexec_b64 s[14:15], s[4:5]
	s_cbranch_execz .LBB6_2800
; %bb.2799:
	v_pk_mov_b32 v[10:11], s[10:11], s[10:11] op_sel:[0,1]
	v_mov_b32_e32 v12, 2
	v_mov_b32_e32 v13, 1
	global_store_dwordx4 v[8:9], v[10:13], off offset:8
.LBB6_2800:
	s_or_b64 exec, exec, s[14:15]
	s_lshl_b64 s[10:11], s[12:13], 12
	v_mov_b32_e32 v3, s11
	v_add_co_u32_e32 v6, vcc, s10, v6
	v_addc_co_u32_e32 v7, vcc, v7, v3, vcc
	s_movk_i32 s10, 0xff1d
	s_mov_b32 s12, 0
	v_and_or_b32 v0, v0, s10, 34
	v_mov_b32_e32 v3, v2
	v_readfirstlane_b32 s10, v6
	v_readfirstlane_b32 s11, v7
	s_mov_b32 s13, s12
	s_mov_b32 s14, s12
	;; [unrolled: 1-line block ×3, first 2 shown]
	s_nop 1
	global_store_dwordx4 v30, v[0:3], s[10:11]
	s_nop 0
	v_pk_mov_b32 v[0:1], s[12:13], s[12:13] op_sel:[0,1]
	v_pk_mov_b32 v[2:3], s[14:15], s[14:15] op_sel:[0,1]
	global_store_dwordx4 v30, v[0:3], s[10:11] offset:16
	global_store_dwordx4 v30, v[0:3], s[10:11] offset:32
	;; [unrolled: 1-line block ×3, first 2 shown]
	s_and_saveexec_b64 s[10:11], s[4:5]
	s_cbranch_execz .LBB6_2808
; %bb.2801:
	v_mov_b32_e32 v6, 0
	global_load_dwordx2 v[12:13], v6, s[6:7] offset:32 glc
	global_load_dwordx2 v[0:1], v6, s[6:7] offset:40
	v_mov_b32_e32 v10, s8
	v_mov_b32_e32 v11, s9
	s_waitcnt vmcnt(0)
	v_readfirstlane_b32 s12, v0
	v_readfirstlane_b32 s13, v1
	s_and_b64 s[12:13], s[12:13], s[8:9]
	s_mul_i32 s13, s13, 24
	s_mul_hi_u32 s14, s12, 24
	s_mul_i32 s12, s12, 24
	s_add_i32 s13, s14, s13
	v_mov_b32_e32 v0, s13
	v_add_co_u32_e32 v4, vcc, s12, v4
	v_addc_co_u32_e32 v5, vcc, v5, v0, vcc
	global_store_dwordx2 v[4:5], v[12:13], off
	buffer_wbl2
	s_waitcnt vmcnt(0)
	global_atomic_cmpswap_x2 v[2:3], v6, v[10:13], s[6:7] offset:32 glc
	s_waitcnt vmcnt(0)
	v_cmp_ne_u64_e32 vcc, v[2:3], v[12:13]
	s_and_saveexec_b64 s[12:13], vcc
	s_cbranch_execz .LBB6_2804
; %bb.2802:
	s_mov_b64 s[14:15], 0
.LBB6_2803:                             ; =>This Inner Loop Header: Depth=1
	s_sleep 1
	global_store_dwordx2 v[4:5], v[2:3], off
	v_mov_b32_e32 v0, s8
	v_mov_b32_e32 v1, s9
	buffer_wbl2
	s_waitcnt vmcnt(0)
	global_atomic_cmpswap_x2 v[0:1], v6, v[0:3], s[6:7] offset:32 glc
	s_waitcnt vmcnt(0)
	v_cmp_eq_u64_e32 vcc, v[0:1], v[2:3]
	s_or_b64 s[14:15], vcc, s[14:15]
	v_pk_mov_b32 v[2:3], v[0:1], v[0:1] op_sel:[0,1]
	s_andn2_b64 exec, exec, s[14:15]
	s_cbranch_execnz .LBB6_2803
.LBB6_2804:
	s_or_b64 exec, exec, s[12:13]
	v_mov_b32_e32 v3, 0
	global_load_dwordx2 v[0:1], v3, s[6:7] offset:16
	s_mov_b64 s[12:13], exec
	v_mbcnt_lo_u32_b32 v2, s12, 0
	v_mbcnt_hi_u32_b32 v2, s13, v2
	v_cmp_eq_u32_e32 vcc, 0, v2
	s_and_saveexec_b64 s[14:15], vcc
	s_cbranch_execz .LBB6_2806
; %bb.2805:
	s_bcnt1_i32_b64 s12, s[12:13]
	v_mov_b32_e32 v2, s12
	buffer_wbl2
	s_waitcnt vmcnt(0)
	global_atomic_add_x2 v[0:1], v[2:3], off offset:8
.LBB6_2806:
	s_or_b64 exec, exec, s[14:15]
	s_waitcnt vmcnt(0)
	global_load_dwordx2 v[2:3], v[0:1], off offset:16
	s_waitcnt vmcnt(0)
	v_cmp_eq_u64_e32 vcc, 0, v[2:3]
	s_cbranch_vccnz .LBB6_2808
; %bb.2807:
	global_load_dword v0, v[0:1], off offset:24
	v_mov_b32_e32 v1, 0
	buffer_wbl2
	s_waitcnt vmcnt(0)
	global_store_dwordx2 v[2:3], v[0:1], off
	v_and_b32_e32 v0, 0xffffff, v0
	v_readfirstlane_b32 m0, v0
	s_sendmsg sendmsg(MSG_INTERRUPT)
.LBB6_2808:
	s_or_b64 exec, exec, s[10:11]
	s_branch .LBB6_2810
.LBB6_2809:
	s_branch .LBB6_2814
.LBB6_2810:                             ; =>This Inner Loop Header: Depth=1
	v_mov_b32_e32 v0, 1
	s_and_saveexec_b64 s[10:11], s[4:5]
	s_cbranch_execz .LBB6_2812
; %bb.2811:                             ;   in Loop: Header=BB6_2810 Depth=1
	global_load_dword v0, v[8:9], off offset:20 glc
	s_waitcnt vmcnt(0)
	buffer_invl2
	buffer_wbinvl1_vol
	v_and_b32_e32 v0, 1, v0
.LBB6_2812:                             ;   in Loop: Header=BB6_2810 Depth=1
	s_or_b64 exec, exec, s[10:11]
	v_readfirstlane_b32 s10, v0
	s_cmp_eq_u32 s10, 0
	s_cbranch_scc1 .LBB6_2809
; %bb.2813:                             ;   in Loop: Header=BB6_2810 Depth=1
	s_sleep 1
	s_cbranch_execnz .LBB6_2810
.LBB6_2814:
	s_and_saveexec_b64 s[10:11], s[4:5]
	s_cbranch_execz .LBB6_2817
; %bb.2815:
	v_mov_b32_e32 v6, 0
	global_load_dwordx2 v[4:5], v6, s[6:7] offset:40
	global_load_dwordx2 v[8:9], v6, s[6:7] offset:24 glc
	global_load_dwordx2 v[10:11], v6, s[6:7]
	v_mov_b32_e32 v1, s9
	s_mov_b64 s[4:5], 0
	s_waitcnt vmcnt(2)
	v_add_co_u32_e32 v3, vcc, 1, v4
	v_addc_co_u32_e32 v7, vcc, 0, v5, vcc
	v_add_co_u32_e32 v0, vcc, s8, v3
	v_addc_co_u32_e32 v1, vcc, v7, v1, vcc
	v_cmp_eq_u64_e32 vcc, 0, v[0:1]
	v_cndmask_b32_e32 v1, v1, v7, vcc
	v_cndmask_b32_e32 v0, v0, v3, vcc
	v_and_b32_e32 v3, v1, v5
	v_and_b32_e32 v4, v0, v4
	v_mul_lo_u32 v3, v3, 24
	v_mul_hi_u32 v5, v4, 24
	v_mul_lo_u32 v4, v4, 24
	v_add_u32_e32 v3, v5, v3
	s_waitcnt vmcnt(0)
	v_add_co_u32_e32 v4, vcc, v10, v4
	v_addc_co_u32_e32 v5, vcc, v11, v3, vcc
	v_mov_b32_e32 v2, v8
	global_store_dwordx2 v[4:5], v[8:9], off
	v_mov_b32_e32 v3, v9
	buffer_wbl2
	s_waitcnt vmcnt(0)
	global_atomic_cmpswap_x2 v[2:3], v6, v[0:3], s[6:7] offset:24 glc
	s_waitcnt vmcnt(0)
	v_cmp_ne_u64_e32 vcc, v[2:3], v[8:9]
	s_and_b64 exec, exec, vcc
	s_cbranch_execz .LBB6_2817
.LBB6_2816:                             ; =>This Inner Loop Header: Depth=1
	s_sleep 1
	global_store_dwordx2 v[4:5], v[2:3], off
	buffer_wbl2
	s_waitcnt vmcnt(0)
	global_atomic_cmpswap_x2 v[8:9], v6, v[0:3], s[6:7] offset:24 glc
	s_waitcnt vmcnt(0)
	v_cmp_eq_u64_e32 vcc, v[8:9], v[2:3]
	s_or_b64 s[4:5], vcc, s[4:5]
	v_pk_mov_b32 v[2:3], v[8:9], v[8:9] op_sel:[0,1]
	s_andn2_b64 exec, exec, s[4:5]
	s_cbranch_execnz .LBB6_2816
.LBB6_2817:
	s_or_b64 exec, exec, s[10:11]
.LBB6_2818:
	s_getpc_b64 s[4:5]
	s_add_u32 s4, s4, .str.29@rel32@lo+4
	s_addc_u32 s5, s5, .str.29@rel32@hi+12
	s_getpc_b64 s[6:7]
	s_add_u32 s6, s6, .str.19@rel32@lo+4
	s_addc_u32 s7, s7, .str.19@rel32@hi+12
	s_getpc_b64 s[10:11]
	s_add_u32 s10, s10, __PRETTY_FUNCTION__._ZN7VecsMemIjLi8192EE5fetchEi@rel32@lo+4
	s_addc_u32 s11, s11, __PRETTY_FUNCTION__._ZN7VecsMemIjLi8192EE5fetchEi@rel32@hi+12
	s_mov_b64 s[8:9], s[48:49]
	s_waitcnt vmcnt(0)
	v_mov_b32_e32 v0, s4
	v_mov_b32_e32 v1, s5
	;; [unrolled: 1-line block ×7, first 2 shown]
	s_getpc_b64 s[12:13]
	s_add_u32 s12, s12, __assert_fail@rel32@lo+4
	s_addc_u32 s13, s13, __assert_fail@rel32@hi+12
	s_swappc_b64 s[30:31], s[12:13]
	s_or_b64 s[28:29], s[28:29], exec
                                        ; implicit-def: $vgpr40
.LBB6_2819:
	s_or_b64 exec, exec, s[34:35]
	v_readlane_b32 s4, v62, 42
	v_readlane_b32 s5, v62, 43
	s_andn2_b64 s[4:5], s[4:5], exec
	s_and_b64 s[6:7], s[28:29], exec
	s_or_b64 s[28:29], s[4:5], s[6:7]
	v_readlane_b32 s4, v62, 40
	s_and_b64 s[6:7], s[26:27], exec
	v_readlane_b32 s5, v62, 41
.LBB6_2820:
	s_or_b64 exec, exec, s[4:5]
	v_readlane_b32 s10, v62, 20
	v_readlane_b32 s11, v62, 21
	s_andn2_b64 s[4:5], s[10:11], exec
	s_and_b64 s[8:9], s[28:29], exec
	s_or_b64 s[80:81], s[4:5], s[8:9]
	v_readlane_b32 s34, v62, 8
	v_readlane_b32 s36, v62, 6
	;; [unrolled: 1-line block ×13, first 2 shown]
	s_and_b64 s[44:45], s[6:7], exec
                                        ; implicit-def: $vgpr22
                                        ; implicit-def: $vgpr20
                                        ; implicit-def: $vgpr41
                                        ; implicit-def: $vgpr44
                                        ; implicit-def: $vgpr60
	v_readlane_b32 s35, v62, 9
	v_readlane_b32 s37, v62, 7
	;; [unrolled: 1-line block ×3, first 2 shown]
	s_mov_b64 s[38:39], 0
	v_readlane_b32 s41, v62, 39
	v_readlane_b32 s43, v62, 37
	;; [unrolled: 1-line block ×10, first 2 shown]
.LBB6_2821:
	s_andn2_saveexec_b64 s[68:69], s[4:5]
	s_cbranch_execz .LBB6_3037
; %bb.2822:
	s_mov_b64 s[66:67], src_private_base
	v_lshrrev_b32_e64 v0, 6, s33
	s_mov_b64 s[8:9], s[48:49]
	v_add_u32_e32 v0, 0x90, v0
	v_mov_b32_e32 v1, s67
	v_mov_b32_e32 v2, v41
	;; [unrolled: 1-line block ×6, first 2 shown]
	s_mov_b64 s[76:77], s[74:75]
	s_mov_b64 s[74:75], s[26:27]
	;; [unrolled: 1-line block ×3, first 2 shown]
	s_getpc_b64 s[82:83]
	s_add_u32 s82, s82, _ZN3sop12sopFactorRecEPNS_3SopEiP7VecsMemIjLi8192EEPN8subgUtil4SubgILi256EEE@rel32@lo+4
	s_addc_u32 s83, s83, _ZN3sop12sopFactorRecEPNS_3SopEiP7VecsMemIjLi8192EEPN8subgUtil4SubgILi256EEE@rel32@hi+12
	v_pk_mov_b32 v[56:57], v[20:21], v[20:21] op_sel:[0,1]
	v_pk_mov_b32 v[46:47], v[22:23], v[22:23] op_sel:[0,1]
	s_swappc_b64 s[30:31], s[82:83]
	v_mov_b32_e32 v42, v0
	v_lshrrev_b32_e64 v0, 6, s33
	s_mov_b64 s[8:9], s[48:49]
	v_add_u32_e32 v0, 0xa0, v0
	v_mov_b32_e32 v1, s67
	v_mov_b32_e32 v2, v41
	v_mov_b32_e32 v3, v46
	v_mov_b32_e32 v4, v47
	v_mov_b32_e32 v5, v56
	v_mov_b32_e32 v6, v57
	v_pk_mov_b32 v[58:59], v[46:47], v[46:47] op_sel:[0,1]
	s_swappc_b64 s[30:31], s[82:83]
	flat_load_dword v2, v[56:57]
	s_movk_i32 s4, 0xff
	v_pk_mov_b32 v[46:47], v[56:57], v[56:57] op_sel:[0,1]
	s_waitcnt vmcnt(0) lgkmcnt(0)
	v_cmp_lt_i32_e32 vcc, s4, v2
	s_mov_b64 s[4:5], s[80:81]
	s_and_saveexec_b64 s[6:7], vcc
	s_xor_b64 s[26:27], exec, s[6:7]
	s_cbranch_execz .LBB6_2824
; %bb.2823:
	s_getpc_b64 s[4:5]
	s_add_u32 s4, s4, .str.43@rel32@lo+4
	s_addc_u32 s5, s5, .str.43@rel32@hi+12
	s_getpc_b64 s[6:7]
	s_add_u32 s6, s6, .str.44@rel32@lo+4
	s_addc_u32 s7, s7, .str.44@rel32@hi+12
	s_getpc_b64 s[10:11]
	s_add_u32 s10, s10, __PRETTY_FUNCTION__._ZN8subgUtil4SubgILi256EE10addNodeAndEii@rel32@lo+4
	s_addc_u32 s11, s11, __PRETTY_FUNCTION__._ZN8subgUtil4SubgILi256EE10addNodeAndEii@rel32@hi+12
	s_mov_b64 s[8:9], s[48:49]
	v_mov_b32_e32 v0, s4
	v_mov_b32_e32 v1, s5
	;; [unrolled: 1-line block ×7, first 2 shown]
	s_getpc_b64 s[12:13]
	s_add_u32 s12, s12, __assert_fail@rel32@lo+4
	s_addc_u32 s13, s13, __assert_fail@rel32@hi+12
	s_swappc_b64 s[30:31], s[12:13]
	s_or_b64 s[4:5], s[80:81], exec
                                        ; implicit-def: $vgpr2
                                        ; implicit-def: $vgpr42
                                        ; implicit-def: $vgpr0
                                        ; implicit-def: $vgpr58
                                        ; implicit-def: $vgpr46
                                        ; implicit-def: $vgpr41
                                        ; implicit-def: $vgpr44
                                        ; implicit-def: $vgpr60
.LBB6_2824:
	s_or_saveexec_b64 s[6:7], s[26:27]
	s_mov_b64 s[8:9], s[44:45]
                                        ; implicit-def: $vgpr40
	s_xor_b64 exec, exec, s[6:7]
	s_cbranch_execz .LBB6_3036
; %bb.2825:
	v_writelane_b32 v62, s6, 16
	v_writelane_b32 v62, s7, 17
	v_writelane_b32 v62, s80, 14
	v_writelane_b32 v62, s81, 15
	v_writelane_b32 v62, s44, 12
	v_writelane_b32 v62, s45, 13
	v_or_b32_e32 v1, v0, v42
	v_writelane_b32 v62, s4, 10
	v_cmp_lt_i32_e32 vcc, -1, v1
	s_mov_b64 s[26:27], s[44:45]
	v_writelane_b32 v62, s5, 11
	s_mov_b64 s[28:29], s[4:5]
                                        ; implicit-def: $vgpr40
	s_and_saveexec_b64 s[4:5], vcc
	s_xor_b64 s[44:45], exec, s[4:5]
	s_cbranch_execz .LBB6_3033
; %bb.2826:
	v_add_u32_e32 v3, 1, v2
	flat_store_dword v[46:47], v3
	v_ashrrev_i32_e32 v3, 31, v2
	v_pk_mov_b32 v[6:7], v[46:47], v[46:47] op_sel:[0,1]
	v_lshlrev_b64 v[4:5], 3, v[2:3]
	v_add_co_u32_e32 v4, vcc, v6, v4
	v_min_i32_e32 v1, v42, v0
	v_max_i32_e32 v0, v42, v0
	v_addc_co_u32_e32 v5, vcc, v7, v5, vcc
	v_readlane_b32 s6, v62, 10
	v_lshlrev_b32_e32 v0, 1, v0
	v_lshlrev_b32_e32 v40, 1, v2
	v_cmp_ne_u32_e32 vcc, v44, v60
	s_mov_b64 s[4:5], -1
	v_readlane_b32 s7, v62, 11
	flat_store_dwordx2 v[4:5], v[0:1] offset:8
	s_and_saveexec_b64 s[80:81], vcc
	s_cbranch_execz .LBB6_3032
; %bb.2827:
	s_mov_b64 s[4:5], src_private_base
	v_lshrrev_b32_e64 v0, 6, s33
	v_pk_mov_b32 v[42:43], v[46:47], v[46:47] op_sel:[0,1]
	s_mov_b64 s[8:9], s[48:49]
	v_add_u32_e32 v0, 0xb0, v0
	v_mov_b32_e32 v1, s5
	v_mov_b32_e32 v2, v41
	;; [unrolled: 1-line block ×6, first 2 shown]
	s_getpc_b64 s[6:7]
	s_add_u32 s6, s6, _ZN3sop12sopFactorRecEPNS_3SopEiP7VecsMemIjLi8192EEPN8subgUtil4SubgILi256EEE@rel32@lo+4
	s_addc_u32 s7, s7, _ZN3sop12sopFactorRecEPNS_3SopEiP7VecsMemIjLi8192EEPN8subgUtil4SubgILi256EEE@rel32@hi+12
	s_swappc_b64 s[30:31], s[6:7]
	flat_load_dword v1, v[46:47]
	s_movk_i32 s4, 0xff
	v_readlane_b32 s26, v62, 10
	v_readlane_b32 s27, v62, 11
	s_waitcnt vmcnt(0) lgkmcnt(0)
	v_cmp_lt_i32_e32 vcc, s4, v1
	s_and_saveexec_b64 s[4:5], vcc
	s_xor_b64 s[28:29], exec, s[4:5]
	s_cbranch_execz .LBB6_2829
; %bb.2828:
	s_getpc_b64 s[4:5]
	s_add_u32 s4, s4, .str.43@rel32@lo+4
	s_addc_u32 s5, s5, .str.43@rel32@hi+12
	s_getpc_b64 s[6:7]
	s_add_u32 s6, s6, .str.44@rel32@lo+4
	s_addc_u32 s7, s7, .str.44@rel32@hi+12
	s_getpc_b64 s[10:11]
	s_add_u32 s10, s10, __PRETTY_FUNCTION__._ZN8subgUtil4SubgILi256EE9addNodeOrEii@rel32@lo+4
	s_addc_u32 s11, s11, __PRETTY_FUNCTION__._ZN8subgUtil4SubgILi256EE9addNodeOrEii@rel32@hi+12
	s_mov_b64 s[8:9], s[48:49]
	v_mov_b32_e32 v0, s4
	v_mov_b32_e32 v1, s5
	;; [unrolled: 1-line block ×7, first 2 shown]
	s_getpc_b64 s[12:13]
	s_add_u32 s12, s12, __assert_fail@rel32@lo+4
	s_addc_u32 s13, s13, __assert_fail@rel32@hi+12
	s_swappc_b64 s[30:31], s[12:13]
	v_readlane_b32 s4, v62, 10
	v_readlane_b32 s5, v62, 11
	s_or_b64 s[26:27], s[4:5], exec
                                        ; implicit-def: $vgpr0
                                        ; implicit-def: $vgpr40
                                        ; implicit-def: $vgpr46_vgpr47
.LBB6_2829:
	s_or_saveexec_b64 s[28:29], s[28:29]
	s_mov_b64 s[4:5], 0
	s_xor_b64 exec, exec, s[28:29]
	s_cbranch_execz .LBB6_3031
; %bb.2830:
	v_max_i32_e32 v4, v40, v0
	v_min_i32_e32 v48, v40, v0
	v_xor_b32_e32 v1, 1, v48
	v_xor_b32_e32 v38, 1, v4
	v_cmp_gt_i32_e64 s[4:5], v1, v38
	s_and_saveexec_b64 s[8:9], s[4:5]
	s_cbranch_execz .LBB6_3026
; %bb.2831:
	s_load_dwordx2 s[10:11], s[48:49], 0x50
	v_mbcnt_lo_u32_b32 v2, -1, 0
	v_mbcnt_hi_u32_b32 v5, -1, v2
	v_readfirstlane_b32 s6, v5
	v_cmp_eq_u32_e64 s[6:7], s6, v5
	v_pk_mov_b32 v[2:3], 0, 0
	s_and_saveexec_b64 s[12:13], s[6:7]
	s_cbranch_execz .LBB6_2837
; %bb.2832:
	v_mov_b32_e32 v6, 0
	s_waitcnt lgkmcnt(0)
	global_load_dwordx2 v[10:11], v6, s[10:11] offset:24 glc
	s_waitcnt vmcnt(0)
	buffer_invl2
	buffer_wbinvl1_vol
	global_load_dwordx2 v[2:3], v6, s[10:11] offset:40
	global_load_dwordx2 v[8:9], v6, s[10:11]
	s_waitcnt vmcnt(1)
	v_and_b32_e32 v2, v2, v10
	v_and_b32_e32 v3, v3, v11
	v_mul_lo_u32 v3, v3, 24
	v_mul_hi_u32 v7, v2, 24
	v_mul_lo_u32 v2, v2, 24
	v_add_u32_e32 v3, v7, v3
	s_waitcnt vmcnt(0)
	v_add_co_u32_e32 v2, vcc, v8, v2
	v_addc_co_u32_e32 v3, vcc, v9, v3, vcc
	global_load_dwordx2 v[8:9], v[2:3], off glc
	s_waitcnt vmcnt(0)
	global_atomic_cmpswap_x2 v[2:3], v6, v[8:11], s[10:11] offset:24 glc
	s_waitcnt vmcnt(0)
	buffer_invl2
	buffer_wbinvl1_vol
	v_cmp_ne_u64_e32 vcc, v[2:3], v[10:11]
	s_and_saveexec_b64 s[14:15], vcc
	s_cbranch_execz .LBB6_2836
; %bb.2833:
	s_mov_b64 s[16:17], 0
.LBB6_2834:                             ; =>This Inner Loop Header: Depth=1
	s_sleep 1
	global_load_dwordx2 v[8:9], v6, s[10:11] offset:40
	global_load_dwordx2 v[12:13], v6, s[10:11]
	v_pk_mov_b32 v[10:11], v[2:3], v[2:3] op_sel:[0,1]
	s_waitcnt vmcnt(1)
	v_and_b32_e32 v2, v8, v10
	s_waitcnt vmcnt(0)
	v_mad_u64_u32 v[2:3], s[18:19], v2, 24, v[12:13]
	v_and_b32_e32 v7, v9, v11
	v_mov_b32_e32 v8, v3
	v_mad_u64_u32 v[8:9], s[18:19], v7, 24, v[8:9]
	v_mov_b32_e32 v3, v8
	global_load_dwordx2 v[8:9], v[2:3], off glc
	s_waitcnt vmcnt(0)
	global_atomic_cmpswap_x2 v[2:3], v6, v[8:11], s[10:11] offset:24 glc
	s_waitcnt vmcnt(0)
	buffer_invl2
	buffer_wbinvl1_vol
	v_cmp_eq_u64_e32 vcc, v[2:3], v[10:11]
	s_or_b64 s[16:17], vcc, s[16:17]
	s_andn2_b64 exec, exec, s[16:17]
	s_cbranch_execnz .LBB6_2834
; %bb.2835:
	s_or_b64 exec, exec, s[16:17]
.LBB6_2836:
	s_or_b64 exec, exec, s[14:15]
.LBB6_2837:
	s_or_b64 exec, exec, s[12:13]
	v_mov_b32_e32 v11, 0
	s_waitcnt lgkmcnt(0)
	global_load_dwordx2 v[12:13], v11, s[10:11] offset:40
	global_load_dwordx4 v[6:9], v11, s[10:11]
	v_readfirstlane_b32 s12, v2
	v_readfirstlane_b32 s13, v3
	s_mov_b64 s[14:15], exec
	s_waitcnt vmcnt(1)
	v_readfirstlane_b32 s16, v12
	v_readfirstlane_b32 s17, v13
	s_and_b64 s[16:17], s[12:13], s[16:17]
	s_mul_i32 s18, s17, 24
	s_mul_hi_u32 s19, s16, 24
	s_mul_i32 s20, s16, 24
	s_add_i32 s18, s19, s18
	v_mov_b32_e32 v3, s18
	s_waitcnt vmcnt(0)
	v_add_co_u32_e32 v2, vcc, s20, v6
	v_addc_co_u32_e32 v3, vcc, v7, v3, vcc
	s_and_saveexec_b64 s[18:19], s[6:7]
	s_cbranch_execz .LBB6_2839
; %bb.2838:
	v_pk_mov_b32 v[12:13], s[14:15], s[14:15] op_sel:[0,1]
	v_mov_b32_e32 v14, 2
	v_mov_b32_e32 v15, 1
	global_store_dwordx4 v[2:3], v[12:15], off offset:8
.LBB6_2839:
	s_or_b64 exec, exec, s[18:19]
	s_lshl_b64 s[14:15], s[16:17], 12
	v_mov_b32_e32 v10, s15
	v_add_co_u32_e32 v8, vcc, s14, v8
	v_addc_co_u32_e32 v9, vcc, v9, v10, vcc
	s_mov_b32 s16, 0
	v_lshlrev_b32_e32 v39, 6, v5
	v_add_co_u32_e32 v14, vcc, v8, v39
	v_mov_b32_e32 v10, 33
	v_mov_b32_e32 v12, v11
	;; [unrolled: 1-line block ×3, first 2 shown]
	v_readfirstlane_b32 s14, v8
	v_readfirstlane_b32 s15, v9
	s_mov_b32 s17, s16
	v_addc_co_u32_e32 v15, vcc, 0, v9, vcc
	s_mov_b32 s18, s16
	s_mov_b32 s19, s16
	s_nop 0
	global_store_dwordx4 v39, v[10:13], s[14:15]
	v_pk_mov_b32 v[8:9], s[16:17], s[16:17] op_sel:[0,1]
	v_pk_mov_b32 v[10:11], s[18:19], s[18:19] op_sel:[0,1]
	global_store_dwordx4 v39, v[8:11], s[14:15] offset:16
	global_store_dwordx4 v39, v[8:11], s[14:15] offset:32
	;; [unrolled: 1-line block ×3, first 2 shown]
	s_and_saveexec_b64 s[14:15], s[6:7]
	s_cbranch_execz .LBB6_2847
; %bb.2840:
	v_mov_b32_e32 v12, 0
	global_load_dwordx2 v[18:19], v12, s[10:11] offset:32 glc
	global_load_dwordx2 v[8:9], v12, s[10:11] offset:40
	v_mov_b32_e32 v16, s12
	v_mov_b32_e32 v17, s13
	s_waitcnt vmcnt(0)
	v_and_b32_e32 v8, s12, v8
	v_and_b32_e32 v9, s13, v9
	v_mul_lo_u32 v9, v9, 24
	v_mul_hi_u32 v10, v8, 24
	v_mul_lo_u32 v8, v8, 24
	v_add_u32_e32 v9, v10, v9
	v_add_co_u32_e32 v10, vcc, v6, v8
	v_addc_co_u32_e32 v11, vcc, v7, v9, vcc
	global_store_dwordx2 v[10:11], v[18:19], off
	buffer_wbl2
	s_waitcnt vmcnt(0)
	global_atomic_cmpswap_x2 v[8:9], v12, v[16:19], s[10:11] offset:32 glc
	s_waitcnt vmcnt(0)
	v_cmp_ne_u64_e32 vcc, v[8:9], v[18:19]
	s_and_saveexec_b64 s[16:17], vcc
	s_cbranch_execz .LBB6_2843
; %bb.2841:
	s_mov_b64 s[18:19], 0
.LBB6_2842:                             ; =>This Inner Loop Header: Depth=1
	s_sleep 1
	global_store_dwordx2 v[10:11], v[8:9], off
	v_mov_b32_e32 v6, s12
	v_mov_b32_e32 v7, s13
	buffer_wbl2
	s_waitcnt vmcnt(0)
	global_atomic_cmpswap_x2 v[6:7], v12, v[6:9], s[10:11] offset:32 glc
	s_waitcnt vmcnt(0)
	v_cmp_eq_u64_e32 vcc, v[6:7], v[8:9]
	s_or_b64 s[18:19], vcc, s[18:19]
	v_pk_mov_b32 v[8:9], v[6:7], v[6:7] op_sel:[0,1]
	s_andn2_b64 exec, exec, s[18:19]
	s_cbranch_execnz .LBB6_2842
.LBB6_2843:
	s_or_b64 exec, exec, s[16:17]
	v_mov_b32_e32 v9, 0
	global_load_dwordx2 v[6:7], v9, s[10:11] offset:16
	s_mov_b64 s[16:17], exec
	v_mbcnt_lo_u32_b32 v8, s16, 0
	v_mbcnt_hi_u32_b32 v8, s17, v8
	v_cmp_eq_u32_e32 vcc, 0, v8
	s_and_saveexec_b64 s[18:19], vcc
	s_cbranch_execz .LBB6_2845
; %bb.2844:
	s_bcnt1_i32_b64 s16, s[16:17]
	v_mov_b32_e32 v8, s16
	buffer_wbl2
	s_waitcnt vmcnt(0)
	global_atomic_add_x2 v[6:7], v[8:9], off offset:8
.LBB6_2845:
	s_or_b64 exec, exec, s[18:19]
	s_waitcnt vmcnt(0)
	global_load_dwordx2 v[8:9], v[6:7], off offset:16
	s_waitcnt vmcnt(0)
	v_cmp_eq_u64_e32 vcc, 0, v[8:9]
	s_cbranch_vccnz .LBB6_2847
; %bb.2846:
	global_load_dword v6, v[6:7], off offset:24
	v_mov_b32_e32 v7, 0
	buffer_wbl2
	s_waitcnt vmcnt(0)
	global_store_dwordx2 v[8:9], v[6:7], off
	v_and_b32_e32 v6, 0xffffff, v6
	v_readfirstlane_b32 m0, v6
	s_sendmsg sendmsg(MSG_INTERRUPT)
.LBB6_2847:
	s_or_b64 exec, exec, s[14:15]
	s_branch .LBB6_2849
.LBB6_2848:
	s_branch .LBB6_2853
.LBB6_2849:                             ; =>This Inner Loop Header: Depth=1
	v_mov_b32_e32 v6, 1
	s_and_saveexec_b64 s[14:15], s[6:7]
	s_cbranch_execz .LBB6_2851
; %bb.2850:                             ;   in Loop: Header=BB6_2849 Depth=1
	global_load_dword v6, v[2:3], off offset:20 glc
	s_waitcnt vmcnt(0)
	buffer_invl2
	buffer_wbinvl1_vol
	v_and_b32_e32 v6, 1, v6
.LBB6_2851:                             ;   in Loop: Header=BB6_2849 Depth=1
	s_or_b64 exec, exec, s[14:15]
	v_readfirstlane_b32 s14, v6
	s_cmp_eq_u32 s14, 0
	s_cbranch_scc1 .LBB6_2848
; %bb.2852:                             ;   in Loop: Header=BB6_2849 Depth=1
	s_sleep 1
	s_cbranch_execnz .LBB6_2849
.LBB6_2853:
	global_load_dwordx2 v[6:7], v[14:15], off
	s_and_saveexec_b64 s[14:15], s[6:7]
	s_cbranch_execz .LBB6_2856
; %bb.2854:
	v_mov_b32_e32 v12, 0
	global_load_dwordx2 v[2:3], v12, s[10:11] offset:40
	global_load_dwordx2 v[14:15], v12, s[10:11] offset:24 glc
	global_load_dwordx2 v[16:17], v12, s[10:11]
	v_mov_b32_e32 v9, s13
	s_mov_b64 s[6:7], 0
	s_waitcnt vmcnt(2)
	v_add_co_u32_e32 v11, vcc, 1, v2
	v_addc_co_u32_e32 v13, vcc, 0, v3, vcc
	v_add_co_u32_e32 v8, vcc, s12, v11
	v_addc_co_u32_e32 v9, vcc, v13, v9, vcc
	v_cmp_eq_u64_e32 vcc, 0, v[8:9]
	v_cndmask_b32_e32 v9, v9, v13, vcc
	v_cndmask_b32_e32 v8, v8, v11, vcc
	v_and_b32_e32 v3, v9, v3
	v_and_b32_e32 v2, v8, v2
	v_mul_lo_u32 v3, v3, 24
	v_mul_hi_u32 v11, v2, 24
	v_mul_lo_u32 v2, v2, 24
	v_add_u32_e32 v3, v11, v3
	s_waitcnt vmcnt(0)
	v_add_co_u32_e32 v2, vcc, v16, v2
	v_addc_co_u32_e32 v3, vcc, v17, v3, vcc
	v_mov_b32_e32 v10, v14
	global_store_dwordx2 v[2:3], v[14:15], off
	v_mov_b32_e32 v11, v15
	buffer_wbl2
	s_waitcnt vmcnt(0)
	global_atomic_cmpswap_x2 v[10:11], v12, v[8:11], s[10:11] offset:24 glc
	s_waitcnt vmcnt(0)
	v_cmp_ne_u64_e32 vcc, v[10:11], v[14:15]
	s_and_b64 exec, exec, vcc
	s_cbranch_execz .LBB6_2856
.LBB6_2855:                             ; =>This Inner Loop Header: Depth=1
	s_sleep 1
	global_store_dwordx2 v[2:3], v[10:11], off
	buffer_wbl2
	s_waitcnt vmcnt(0)
	global_atomic_cmpswap_x2 v[14:15], v12, v[8:11], s[10:11] offset:24 glc
	s_waitcnt vmcnt(0)
	v_cmp_eq_u64_e32 vcc, v[14:15], v[10:11]
	s_or_b64 s[6:7], vcc, s[6:7]
	v_pk_mov_b32 v[10:11], v[14:15], v[14:15] op_sel:[0,1]
	s_andn2_b64 exec, exec, s[6:7]
	s_cbranch_execnz .LBB6_2855
.LBB6_2856:
	s_or_b64 exec, exec, s[14:15]
	s_getpc_b64 s[12:13]
	s_add_u32 s12, s12, .str.45@rel32@lo+4
	s_addc_u32 s13, s13, .str.45@rel32@hi+12
	s_cmp_lg_u64 s[12:13], 0
	s_cbranch_scc0 .LBB6_2948
; %bb.2857:
	s_waitcnt vmcnt(0)
	v_and_b32_e32 v2, 2, v6
	v_mov_b32_e32 v35, 0
	v_and_b32_e32 v8, -3, v6
	v_mov_b32_e32 v9, v7
	s_mov_b64 s[14:15], 7
	v_mov_b32_e32 v12, 2
	v_mov_b32_e32 v13, 1
	s_branch .LBB6_2859
.LBB6_2858:                             ;   in Loop: Header=BB6_2859 Depth=1
	s_or_b64 exec, exec, s[20:21]
	s_sub_u32 s14, s14, s16
	s_subb_u32 s15, s15, s17
	s_add_u32 s12, s12, s16
	s_addc_u32 s13, s13, s17
	s_cmp_lg_u64 s[14:15], 0
	s_cbranch_scc0 .LBB6_2947
.LBB6_2859:                             ; =>This Loop Header: Depth=1
                                        ;     Child Loop BB6_2862 Depth 2
                                        ;     Child Loop BB6_2870 Depth 2
	;; [unrolled: 1-line block ×11, first 2 shown]
	v_cmp_lt_u64_e64 s[6:7], s[14:15], 56
	s_and_b64 s[6:7], s[6:7], exec
	v_cmp_gt_u64_e64 s[6:7], s[14:15], 7
	s_cselect_b32 s17, s15, 0
	s_cselect_b32 s16, s14, 56
	s_and_b64 vcc, exec, s[6:7]
	s_cbranch_vccnz .LBB6_2864
; %bb.2860:                             ;   in Loop: Header=BB6_2859 Depth=1
	s_mov_b64 s[6:7], 0
	s_cmp_eq_u64 s[14:15], 0
	v_pk_mov_b32 v[16:17], 0, 0
	s_cbranch_scc1 .LBB6_2863
; %bb.2861:                             ;   in Loop: Header=BB6_2859 Depth=1
	s_lshl_b64 s[18:19], s[16:17], 3
	s_mov_b64 s[20:21], 0
	v_pk_mov_b32 v[16:17], 0, 0
	s_mov_b64 s[22:23], s[12:13]
.LBB6_2862:                             ;   Parent Loop BB6_2859 Depth=1
                                        ; =>  This Inner Loop Header: Depth=2
	global_load_ubyte v3, v35, s[22:23]
	s_waitcnt vmcnt(0)
	v_and_b32_e32 v34, 0xffff, v3
	v_lshlrev_b64 v[10:11], s20, v[34:35]
	s_add_u32 s20, s20, 8
	s_addc_u32 s21, s21, 0
	s_add_u32 s22, s22, 1
	s_addc_u32 s23, s23, 0
	v_or_b32_e32 v16, v10, v16
	s_cmp_lg_u32 s18, s20
	v_or_b32_e32 v17, v11, v17
	s_cbranch_scc1 .LBB6_2862
.LBB6_2863:                             ;   in Loop: Header=BB6_2859 Depth=1
	s_mov_b32 s22, 0
	s_branch .LBB6_2865
.LBB6_2864:                             ;   in Loop: Header=BB6_2859 Depth=1
	s_mov_b64 s[6:7], -1
                                        ; implicit-def: $vgpr16_vgpr17
                                        ; implicit-def: $sgpr22
.LBB6_2865:                             ;   in Loop: Header=BB6_2859 Depth=1
	s_andn2_b64 vcc, exec, s[6:7]
	s_mov_b64 s[6:7], s[12:13]
	s_cbranch_vccnz .LBB6_2867
; %bb.2866:                             ;   in Loop: Header=BB6_2859 Depth=1
	global_load_dwordx2 v[16:17], v35, s[12:13]
	s_add_i32 s22, s16, -8
	s_add_u32 s6, s12, 8
	s_addc_u32 s7, s13, 0
.LBB6_2867:                             ;   in Loop: Header=BB6_2859 Depth=1
	s_cmp_gt_u32 s22, 7
	s_cbranch_scc1 .LBB6_2871
; %bb.2868:                             ;   in Loop: Header=BB6_2859 Depth=1
	s_cmp_eq_u32 s22, 0
	s_cbranch_scc1 .LBB6_2872
; %bb.2869:                             ;   in Loop: Header=BB6_2859 Depth=1
	s_mov_b64 s[18:19], 0
	v_pk_mov_b32 v[18:19], 0, 0
	s_mov_b64 s[20:21], 0
.LBB6_2870:                             ;   Parent Loop BB6_2859 Depth=1
                                        ; =>  This Inner Loop Header: Depth=2
	s_add_u32 s24, s6, s20
	s_addc_u32 s25, s7, s21
	global_load_ubyte v3, v35, s[24:25]
	s_add_u32 s20, s20, 1
	s_addc_u32 s21, s21, 0
	s_waitcnt vmcnt(0)
	v_and_b32_e32 v34, 0xffff, v3
	v_lshlrev_b64 v[10:11], s18, v[34:35]
	s_add_u32 s18, s18, 8
	s_addc_u32 s19, s19, 0
	v_or_b32_e32 v18, v10, v18
	s_cmp_lg_u32 s22, s20
	v_or_b32_e32 v19, v11, v19
	s_cbranch_scc1 .LBB6_2870
	s_branch .LBB6_2873
.LBB6_2871:                             ;   in Loop: Header=BB6_2859 Depth=1
	s_mov_b64 s[18:19], -1
                                        ; implicit-def: $vgpr18_vgpr19
                                        ; implicit-def: $sgpr23
	s_branch .LBB6_2874
.LBB6_2872:                             ;   in Loop: Header=BB6_2859 Depth=1
	v_pk_mov_b32 v[18:19], 0, 0
.LBB6_2873:                             ;   in Loop: Header=BB6_2859 Depth=1
	s_mov_b64 s[18:19], 0
	s_mov_b32 s23, 0
.LBB6_2874:                             ;   in Loop: Header=BB6_2859 Depth=1
	s_andn2_b64 vcc, exec, s[18:19]
	s_cbranch_vccnz .LBB6_2876
; %bb.2875:                             ;   in Loop: Header=BB6_2859 Depth=1
	global_load_dwordx2 v[18:19], v35, s[6:7]
	s_add_i32 s23, s22, -8
	s_add_u32 s6, s6, 8
	s_addc_u32 s7, s7, 0
.LBB6_2876:                             ;   in Loop: Header=BB6_2859 Depth=1
	s_cmp_gt_u32 s23, 7
	s_cbranch_scc1 .LBB6_2880
; %bb.2877:                             ;   in Loop: Header=BB6_2859 Depth=1
	s_cmp_eq_u32 s23, 0
	s_cbranch_scc1 .LBB6_2881
; %bb.2878:                             ;   in Loop: Header=BB6_2859 Depth=1
	s_mov_b64 s[18:19], 0
	v_pk_mov_b32 v[20:21], 0, 0
	s_mov_b64 s[20:21], 0
.LBB6_2879:                             ;   Parent Loop BB6_2859 Depth=1
                                        ; =>  This Inner Loop Header: Depth=2
	s_add_u32 s24, s6, s20
	s_addc_u32 s25, s7, s21
	global_load_ubyte v3, v35, s[24:25]
	s_add_u32 s20, s20, 1
	s_addc_u32 s21, s21, 0
	s_waitcnt vmcnt(0)
	v_and_b32_e32 v34, 0xffff, v3
	v_lshlrev_b64 v[10:11], s18, v[34:35]
	s_add_u32 s18, s18, 8
	s_addc_u32 s19, s19, 0
	v_or_b32_e32 v20, v10, v20
	s_cmp_lg_u32 s23, s20
	v_or_b32_e32 v21, v11, v21
	s_cbranch_scc1 .LBB6_2879
	s_branch .LBB6_2882
.LBB6_2880:                             ;   in Loop: Header=BB6_2859 Depth=1
	s_mov_b64 s[18:19], -1
                                        ; implicit-def: $sgpr22
	s_branch .LBB6_2883
.LBB6_2881:                             ;   in Loop: Header=BB6_2859 Depth=1
	v_pk_mov_b32 v[20:21], 0, 0
.LBB6_2882:                             ;   in Loop: Header=BB6_2859 Depth=1
	s_mov_b64 s[18:19], 0
	s_mov_b32 s22, 0
.LBB6_2883:                             ;   in Loop: Header=BB6_2859 Depth=1
	s_andn2_b64 vcc, exec, s[18:19]
	s_cbranch_vccnz .LBB6_2885
; %bb.2884:                             ;   in Loop: Header=BB6_2859 Depth=1
	global_load_dwordx2 v[20:21], v35, s[6:7]
	s_add_i32 s22, s23, -8
	s_add_u32 s6, s6, 8
	s_addc_u32 s7, s7, 0
.LBB6_2885:                             ;   in Loop: Header=BB6_2859 Depth=1
	s_cmp_gt_u32 s22, 7
	s_cbranch_scc1 .LBB6_2889
; %bb.2886:                             ;   in Loop: Header=BB6_2859 Depth=1
	s_cmp_eq_u32 s22, 0
	s_cbranch_scc1 .LBB6_2890
; %bb.2887:                             ;   in Loop: Header=BB6_2859 Depth=1
	s_mov_b64 s[18:19], 0
	v_pk_mov_b32 v[22:23], 0, 0
	s_mov_b64 s[20:21], 0
.LBB6_2888:                             ;   Parent Loop BB6_2859 Depth=1
                                        ; =>  This Inner Loop Header: Depth=2
	s_add_u32 s24, s6, s20
	s_addc_u32 s25, s7, s21
	global_load_ubyte v3, v35, s[24:25]
	s_add_u32 s20, s20, 1
	s_addc_u32 s21, s21, 0
	s_waitcnt vmcnt(0)
	v_and_b32_e32 v34, 0xffff, v3
	v_lshlrev_b64 v[10:11], s18, v[34:35]
	s_add_u32 s18, s18, 8
	s_addc_u32 s19, s19, 0
	v_or_b32_e32 v22, v10, v22
	s_cmp_lg_u32 s22, s20
	v_or_b32_e32 v23, v11, v23
	s_cbranch_scc1 .LBB6_2888
	s_branch .LBB6_2891
.LBB6_2889:                             ;   in Loop: Header=BB6_2859 Depth=1
	s_mov_b64 s[18:19], -1
                                        ; implicit-def: $vgpr22_vgpr23
                                        ; implicit-def: $sgpr23
	s_branch .LBB6_2892
.LBB6_2890:                             ;   in Loop: Header=BB6_2859 Depth=1
	v_pk_mov_b32 v[22:23], 0, 0
.LBB6_2891:                             ;   in Loop: Header=BB6_2859 Depth=1
	s_mov_b64 s[18:19], 0
	s_mov_b32 s23, 0
.LBB6_2892:                             ;   in Loop: Header=BB6_2859 Depth=1
	s_andn2_b64 vcc, exec, s[18:19]
	s_cbranch_vccnz .LBB6_2894
; %bb.2893:                             ;   in Loop: Header=BB6_2859 Depth=1
	global_load_dwordx2 v[22:23], v35, s[6:7]
	s_add_i32 s23, s22, -8
	s_add_u32 s6, s6, 8
	s_addc_u32 s7, s7, 0
.LBB6_2894:                             ;   in Loop: Header=BB6_2859 Depth=1
	s_cmp_gt_u32 s23, 7
	s_cbranch_scc1 .LBB6_2898
; %bb.2895:                             ;   in Loop: Header=BB6_2859 Depth=1
	s_cmp_eq_u32 s23, 0
	s_cbranch_scc1 .LBB6_2899
; %bb.2896:                             ;   in Loop: Header=BB6_2859 Depth=1
	s_mov_b64 s[18:19], 0
	v_pk_mov_b32 v[24:25], 0, 0
	s_mov_b64 s[20:21], 0
.LBB6_2897:                             ;   Parent Loop BB6_2859 Depth=1
                                        ; =>  This Inner Loop Header: Depth=2
	s_add_u32 s24, s6, s20
	s_addc_u32 s25, s7, s21
	global_load_ubyte v3, v35, s[24:25]
	s_add_u32 s20, s20, 1
	s_addc_u32 s21, s21, 0
	s_waitcnt vmcnt(0)
	v_and_b32_e32 v34, 0xffff, v3
	v_lshlrev_b64 v[10:11], s18, v[34:35]
	s_add_u32 s18, s18, 8
	s_addc_u32 s19, s19, 0
	v_or_b32_e32 v24, v10, v24
	s_cmp_lg_u32 s23, s20
	v_or_b32_e32 v25, v11, v25
	s_cbranch_scc1 .LBB6_2897
	s_branch .LBB6_2900
.LBB6_2898:                             ;   in Loop: Header=BB6_2859 Depth=1
	s_mov_b64 s[18:19], -1
                                        ; implicit-def: $sgpr22
	s_branch .LBB6_2901
.LBB6_2899:                             ;   in Loop: Header=BB6_2859 Depth=1
	v_pk_mov_b32 v[24:25], 0, 0
.LBB6_2900:                             ;   in Loop: Header=BB6_2859 Depth=1
	s_mov_b64 s[18:19], 0
	s_mov_b32 s22, 0
.LBB6_2901:                             ;   in Loop: Header=BB6_2859 Depth=1
	s_andn2_b64 vcc, exec, s[18:19]
	s_cbranch_vccnz .LBB6_2903
; %bb.2902:                             ;   in Loop: Header=BB6_2859 Depth=1
	global_load_dwordx2 v[24:25], v35, s[6:7]
	s_add_i32 s22, s23, -8
	s_add_u32 s6, s6, 8
	s_addc_u32 s7, s7, 0
.LBB6_2903:                             ;   in Loop: Header=BB6_2859 Depth=1
	s_cmp_gt_u32 s22, 7
	s_cbranch_scc1 .LBB6_2907
; %bb.2904:                             ;   in Loop: Header=BB6_2859 Depth=1
	s_cmp_eq_u32 s22, 0
	s_cbranch_scc1 .LBB6_2908
; %bb.2905:                             ;   in Loop: Header=BB6_2859 Depth=1
	s_mov_b64 s[18:19], 0
	v_pk_mov_b32 v[26:27], 0, 0
	s_mov_b64 s[20:21], 0
.LBB6_2906:                             ;   Parent Loop BB6_2859 Depth=1
                                        ; =>  This Inner Loop Header: Depth=2
	s_add_u32 s24, s6, s20
	s_addc_u32 s25, s7, s21
	global_load_ubyte v3, v35, s[24:25]
	s_add_u32 s20, s20, 1
	s_addc_u32 s21, s21, 0
	s_waitcnt vmcnt(0)
	v_and_b32_e32 v34, 0xffff, v3
	v_lshlrev_b64 v[10:11], s18, v[34:35]
	s_add_u32 s18, s18, 8
	s_addc_u32 s19, s19, 0
	v_or_b32_e32 v26, v10, v26
	s_cmp_lg_u32 s22, s20
	v_or_b32_e32 v27, v11, v27
	s_cbranch_scc1 .LBB6_2906
	s_branch .LBB6_2909
.LBB6_2907:                             ;   in Loop: Header=BB6_2859 Depth=1
	s_mov_b64 s[18:19], -1
                                        ; implicit-def: $vgpr26_vgpr27
                                        ; implicit-def: $sgpr23
	s_branch .LBB6_2910
.LBB6_2908:                             ;   in Loop: Header=BB6_2859 Depth=1
	v_pk_mov_b32 v[26:27], 0, 0
.LBB6_2909:                             ;   in Loop: Header=BB6_2859 Depth=1
	s_mov_b64 s[18:19], 0
	s_mov_b32 s23, 0
.LBB6_2910:                             ;   in Loop: Header=BB6_2859 Depth=1
	s_andn2_b64 vcc, exec, s[18:19]
	s_cbranch_vccnz .LBB6_2912
; %bb.2911:                             ;   in Loop: Header=BB6_2859 Depth=1
	global_load_dwordx2 v[26:27], v35, s[6:7]
	s_add_i32 s23, s22, -8
	s_add_u32 s6, s6, 8
	s_addc_u32 s7, s7, 0
.LBB6_2912:                             ;   in Loop: Header=BB6_2859 Depth=1
	s_cmp_gt_u32 s23, 7
	s_cbranch_scc1 .LBB6_2916
; %bb.2913:                             ;   in Loop: Header=BB6_2859 Depth=1
	s_cmp_eq_u32 s23, 0
	s_cbranch_scc1 .LBB6_2917
; %bb.2914:                             ;   in Loop: Header=BB6_2859 Depth=1
	s_mov_b64 s[18:19], 0
	v_pk_mov_b32 v[28:29], 0, 0
	s_mov_b64 s[20:21], s[6:7]
.LBB6_2915:                             ;   Parent Loop BB6_2859 Depth=1
                                        ; =>  This Inner Loop Header: Depth=2
	global_load_ubyte v3, v35, s[20:21]
	s_add_i32 s23, s23, -1
	s_waitcnt vmcnt(0)
	v_and_b32_e32 v34, 0xffff, v3
	v_lshlrev_b64 v[10:11], s18, v[34:35]
	s_add_u32 s18, s18, 8
	s_addc_u32 s19, s19, 0
	s_add_u32 s20, s20, 1
	s_addc_u32 s21, s21, 0
	v_or_b32_e32 v28, v10, v28
	s_cmp_lg_u32 s23, 0
	v_or_b32_e32 v29, v11, v29
	s_cbranch_scc1 .LBB6_2915
	s_branch .LBB6_2918
.LBB6_2916:                             ;   in Loop: Header=BB6_2859 Depth=1
	s_mov_b64 s[18:19], -1
	s_branch .LBB6_2919
.LBB6_2917:                             ;   in Loop: Header=BB6_2859 Depth=1
	v_pk_mov_b32 v[28:29], 0, 0
.LBB6_2918:                             ;   in Loop: Header=BB6_2859 Depth=1
	s_mov_b64 s[18:19], 0
.LBB6_2919:                             ;   in Loop: Header=BB6_2859 Depth=1
	s_andn2_b64 vcc, exec, s[18:19]
	s_cbranch_vccnz .LBB6_2921
; %bb.2920:                             ;   in Loop: Header=BB6_2859 Depth=1
	global_load_dwordx2 v[28:29], v35, s[6:7]
.LBB6_2921:                             ;   in Loop: Header=BB6_2859 Depth=1
	v_readfirstlane_b32 s6, v5
	v_cmp_eq_u32_e64 s[6:7], s6, v5
	s_waitcnt vmcnt(0)
	v_pk_mov_b32 v[10:11], 0, 0
	s_and_saveexec_b64 s[18:19], s[6:7]
	s_cbranch_execz .LBB6_2927
; %bb.2922:                             ;   in Loop: Header=BB6_2859 Depth=1
	global_load_dwordx2 v[32:33], v35, s[10:11] offset:24 glc
	s_waitcnt vmcnt(0)
	buffer_invl2
	buffer_wbinvl1_vol
	global_load_dwordx2 v[10:11], v35, s[10:11] offset:40
	global_load_dwordx2 v[14:15], v35, s[10:11]
	s_waitcnt vmcnt(1)
	v_and_b32_e32 v3, v10, v32
	v_and_b32_e32 v10, v11, v33
	v_mul_lo_u32 v10, v10, 24
	v_mul_hi_u32 v11, v3, 24
	v_mul_lo_u32 v3, v3, 24
	v_add_u32_e32 v11, v11, v10
	s_waitcnt vmcnt(0)
	v_add_co_u32_e32 v10, vcc, v14, v3
	v_addc_co_u32_e32 v11, vcc, v15, v11, vcc
	global_load_dwordx2 v[30:31], v[10:11], off glc
	s_waitcnt vmcnt(0)
	global_atomic_cmpswap_x2 v[10:11], v35, v[30:33], s[10:11] offset:24 glc
	s_waitcnt vmcnt(0)
	buffer_invl2
	buffer_wbinvl1_vol
	v_cmp_ne_u64_e32 vcc, v[10:11], v[32:33]
	s_and_saveexec_b64 s[20:21], vcc
	s_cbranch_execz .LBB6_2926
; %bb.2923:                             ;   in Loop: Header=BB6_2859 Depth=1
	s_mov_b64 s[22:23], 0
.LBB6_2924:                             ;   Parent Loop BB6_2859 Depth=1
                                        ; =>  This Inner Loop Header: Depth=2
	s_sleep 1
	global_load_dwordx2 v[14:15], v35, s[10:11] offset:40
	global_load_dwordx2 v[30:31], v35, s[10:11]
	v_pk_mov_b32 v[32:33], v[10:11], v[10:11] op_sel:[0,1]
	s_waitcnt vmcnt(1)
	v_and_b32_e32 v10, v14, v32
	s_waitcnt vmcnt(0)
	v_mad_u64_u32 v[10:11], s[24:25], v10, 24, v[30:31]
	v_and_b32_e32 v3, v15, v33
	v_mov_b32_e32 v14, v11
	v_mad_u64_u32 v[14:15], s[24:25], v3, 24, v[14:15]
	v_mov_b32_e32 v11, v14
	global_load_dwordx2 v[30:31], v[10:11], off glc
	s_waitcnt vmcnt(0)
	global_atomic_cmpswap_x2 v[10:11], v35, v[30:33], s[10:11] offset:24 glc
	s_waitcnt vmcnt(0)
	buffer_invl2
	buffer_wbinvl1_vol
	v_cmp_eq_u64_e32 vcc, v[10:11], v[32:33]
	s_or_b64 s[22:23], vcc, s[22:23]
	s_andn2_b64 exec, exec, s[22:23]
	s_cbranch_execnz .LBB6_2924
; %bb.2925:                             ;   in Loop: Header=BB6_2859 Depth=1
	s_or_b64 exec, exec, s[22:23]
.LBB6_2926:                             ;   in Loop: Header=BB6_2859 Depth=1
	s_or_b64 exec, exec, s[20:21]
.LBB6_2927:                             ;   in Loop: Header=BB6_2859 Depth=1
	s_or_b64 exec, exec, s[18:19]
	global_load_dwordx2 v[14:15], v35, s[10:11] offset:40
	global_load_dwordx4 v[30:33], v35, s[10:11]
	v_readfirstlane_b32 s18, v10
	v_readfirstlane_b32 s19, v11
	s_mov_b64 s[20:21], exec
	s_waitcnt vmcnt(1)
	v_readfirstlane_b32 s22, v14
	v_readfirstlane_b32 s23, v15
	s_and_b64 s[22:23], s[18:19], s[22:23]
	s_mul_i32 s24, s23, 24
	s_mul_hi_u32 s25, s22, 24
	s_mul_i32 vcc_lo, s22, 24
	s_add_i32 s24, s25, s24
	v_mov_b32_e32 v3, s24
	s_waitcnt vmcnt(0)
	v_add_co_u32_e32 v36, vcc, vcc_lo, v30
	v_addc_co_u32_e32 v37, vcc, v31, v3, vcc
	s_and_saveexec_b64 s[24:25], s[6:7]
	s_cbranch_execz .LBB6_2929
; %bb.2928:                             ;   in Loop: Header=BB6_2859 Depth=1
	v_pk_mov_b32 v[10:11], s[20:21], s[20:21] op_sel:[0,1]
	global_store_dwordx4 v[36:37], v[10:13], off offset:8
.LBB6_2929:                             ;   in Loop: Header=BB6_2859 Depth=1
	s_or_b64 exec, exec, s[24:25]
	s_lshl_b64 s[20:21], s[22:23], 12
	v_mov_b32_e32 v3, s21
	v_add_co_u32_e32 v32, vcc, s20, v32
	v_addc_co_u32_e32 v3, vcc, v33, v3, vcc
	v_or_b32_e32 v11, v8, v2
	v_cmp_gt_u64_e64 vcc, s[14:15], 56
	s_lshl_b32 s20, s16, 2
	v_cndmask_b32_e32 v8, v11, v8, vcc
	s_add_i32 s20, s20, 28
	v_or_b32_e32 v10, 0, v9
	s_and_b32 s20, s20, 0x1e0
	v_and_b32_e32 v8, 0xffffff1f, v8
	v_cndmask_b32_e32 v15, v10, v9, vcc
	v_or_b32_e32 v14, s20, v8
	v_readfirstlane_b32 s20, v32
	v_readfirstlane_b32 s21, v3
	s_nop 4
	global_store_dwordx4 v39, v[14:17], s[20:21]
	global_store_dwordx4 v39, v[18:21], s[20:21] offset:16
	global_store_dwordx4 v39, v[22:25], s[20:21] offset:32
	global_store_dwordx4 v39, v[26:29], s[20:21] offset:48
	s_and_saveexec_b64 s[20:21], s[6:7]
	s_cbranch_execz .LBB6_2937
; %bb.2930:                             ;   in Loop: Header=BB6_2859 Depth=1
	global_load_dwordx2 v[18:19], v35, s[10:11] offset:32 glc
	global_load_dwordx2 v[8:9], v35, s[10:11] offset:40
	v_mov_b32_e32 v16, s18
	v_mov_b32_e32 v17, s19
	s_waitcnt vmcnt(0)
	v_readfirstlane_b32 s22, v8
	v_readfirstlane_b32 s23, v9
	s_and_b64 s[22:23], s[22:23], s[18:19]
	s_mul_i32 s23, s23, 24
	s_mul_hi_u32 s24, s22, 24
	s_mul_i32 s22, s22, 24
	s_add_i32 s23, s24, s23
	v_mov_b32_e32 v8, s23
	v_add_co_u32_e32 v14, vcc, s22, v30
	v_addc_co_u32_e32 v15, vcc, v31, v8, vcc
	global_store_dwordx2 v[14:15], v[18:19], off
	buffer_wbl2
	s_waitcnt vmcnt(0)
	global_atomic_cmpswap_x2 v[10:11], v35, v[16:19], s[10:11] offset:32 glc
	s_waitcnt vmcnt(0)
	v_cmp_ne_u64_e32 vcc, v[10:11], v[18:19]
	s_and_saveexec_b64 s[22:23], vcc
	s_cbranch_execz .LBB6_2933
; %bb.2931:                             ;   in Loop: Header=BB6_2859 Depth=1
	s_mov_b64 s[24:25], 0
.LBB6_2932:                             ;   Parent Loop BB6_2859 Depth=1
                                        ; =>  This Inner Loop Header: Depth=2
	s_sleep 1
	global_store_dwordx2 v[14:15], v[10:11], off
	v_mov_b32_e32 v8, s18
	v_mov_b32_e32 v9, s19
	buffer_wbl2
	s_waitcnt vmcnt(0)
	global_atomic_cmpswap_x2 v[8:9], v35, v[8:11], s[10:11] offset:32 glc
	s_waitcnt vmcnt(0)
	v_cmp_eq_u64_e32 vcc, v[8:9], v[10:11]
	s_or_b64 s[24:25], vcc, s[24:25]
	v_pk_mov_b32 v[10:11], v[8:9], v[8:9] op_sel:[0,1]
	s_andn2_b64 exec, exec, s[24:25]
	s_cbranch_execnz .LBB6_2932
.LBB6_2933:                             ;   in Loop: Header=BB6_2859 Depth=1
	s_or_b64 exec, exec, s[22:23]
	global_load_dwordx2 v[8:9], v35, s[10:11] offset:16
	s_mov_b64 s[24:25], exec
	v_mbcnt_lo_u32_b32 v10, s24, 0
	v_mbcnt_hi_u32_b32 v10, s25, v10
	v_cmp_eq_u32_e32 vcc, 0, v10
	s_and_saveexec_b64 s[22:23], vcc
	s_cbranch_execz .LBB6_2935
; %bb.2934:                             ;   in Loop: Header=BB6_2859 Depth=1
	s_bcnt1_i32_b64 s24, s[24:25]
	v_mov_b32_e32 v34, s24
	buffer_wbl2
	s_waitcnt vmcnt(0)
	global_atomic_add_x2 v[8:9], v[34:35], off offset:8
.LBB6_2935:                             ;   in Loop: Header=BB6_2859 Depth=1
	s_or_b64 exec, exec, s[22:23]
	s_waitcnt vmcnt(0)
	global_load_dwordx2 v[10:11], v[8:9], off offset:16
	s_waitcnt vmcnt(0)
	v_cmp_eq_u64_e32 vcc, 0, v[10:11]
	s_cbranch_vccnz .LBB6_2937
; %bb.2936:                             ;   in Loop: Header=BB6_2859 Depth=1
	global_load_dword v34, v[8:9], off offset:24
	s_waitcnt vmcnt(0)
	v_and_b32_e32 v8, 0xffffff, v34
	v_readfirstlane_b32 m0, v8
	buffer_wbl2
	global_store_dwordx2 v[10:11], v[34:35], off
	s_sendmsg sendmsg(MSG_INTERRUPT)
.LBB6_2937:                             ;   in Loop: Header=BB6_2859 Depth=1
	s_or_b64 exec, exec, s[20:21]
	v_add_co_u32_e32 v8, vcc, v32, v39
	v_addc_co_u32_e32 v9, vcc, 0, v3, vcc
	s_branch .LBB6_2939
.LBB6_2938:                             ;   in Loop: Header=BB6_2859 Depth=1
	s_branch .LBB6_2943
.LBB6_2939:                             ;   Parent Loop BB6_2859 Depth=1
                                        ; =>  This Inner Loop Header: Depth=2
	v_mov_b32_e32 v3, 1
	s_and_saveexec_b64 s[20:21], s[6:7]
	s_cbranch_execz .LBB6_2941
; %bb.2940:                             ;   in Loop: Header=BB6_2939 Depth=2
	global_load_dword v3, v[36:37], off offset:20 glc
	s_waitcnt vmcnt(0)
	buffer_invl2
	buffer_wbinvl1_vol
	v_and_b32_e32 v3, 1, v3
.LBB6_2941:                             ;   in Loop: Header=BB6_2939 Depth=2
	s_or_b64 exec, exec, s[20:21]
	v_readfirstlane_b32 s20, v3
	s_cmp_eq_u32 s20, 0
	s_cbranch_scc1 .LBB6_2938
; %bb.2942:                             ;   in Loop: Header=BB6_2939 Depth=2
	s_sleep 1
	s_cbranch_execnz .LBB6_2939
.LBB6_2943:                             ;   in Loop: Header=BB6_2859 Depth=1
	global_load_dwordx4 v[8:11], v[8:9], off
	s_and_saveexec_b64 s[20:21], s[6:7]
	s_cbranch_execz .LBB6_2858
; %bb.2944:                             ;   in Loop: Header=BB6_2859 Depth=1
	global_load_dwordx2 v[10:11], v35, s[10:11] offset:40
	global_load_dwordx2 v[18:19], v35, s[10:11] offset:24 glc
	global_load_dwordx2 v[20:21], v35, s[10:11]
	v_mov_b32_e32 v3, s19
	s_waitcnt vmcnt(2)
	v_add_co_u32_e32 v17, vcc, 1, v10
	v_addc_co_u32_e32 v22, vcc, 0, v11, vcc
	v_add_co_u32_e32 v14, vcc, s18, v17
	v_addc_co_u32_e32 v15, vcc, v22, v3, vcc
	v_cmp_eq_u64_e32 vcc, 0, v[14:15]
	v_cndmask_b32_e32 v15, v15, v22, vcc
	v_cndmask_b32_e32 v14, v14, v17, vcc
	v_and_b32_e32 v3, v15, v11
	v_and_b32_e32 v10, v14, v10
	v_mul_lo_u32 v3, v3, 24
	v_mul_hi_u32 v11, v10, 24
	v_mul_lo_u32 v10, v10, 24
	v_add_u32_e32 v3, v11, v3
	s_waitcnt vmcnt(0)
	v_add_co_u32_e32 v10, vcc, v20, v10
	v_addc_co_u32_e32 v11, vcc, v21, v3, vcc
	v_mov_b32_e32 v16, v18
	global_store_dwordx2 v[10:11], v[18:19], off
	v_mov_b32_e32 v17, v19
	buffer_wbl2
	s_waitcnt vmcnt(0)
	global_atomic_cmpswap_x2 v[16:17], v35, v[14:17], s[10:11] offset:24 glc
	s_waitcnt vmcnt(0)
	v_cmp_ne_u64_e32 vcc, v[16:17], v[18:19]
	s_and_b64 exec, exec, vcc
	s_cbranch_execz .LBB6_2858
; %bb.2945:                             ;   in Loop: Header=BB6_2859 Depth=1
	s_mov_b64 s[6:7], 0
.LBB6_2946:                             ;   Parent Loop BB6_2859 Depth=1
                                        ; =>  This Inner Loop Header: Depth=2
	s_sleep 1
	global_store_dwordx2 v[10:11], v[16:17], off
	buffer_wbl2
	s_waitcnt vmcnt(0)
	global_atomic_cmpswap_x2 v[18:19], v35, v[14:17], s[10:11] offset:24 glc
	s_waitcnt vmcnt(0)
	v_cmp_eq_u64_e32 vcc, v[18:19], v[16:17]
	s_or_b64 s[6:7], vcc, s[6:7]
	v_pk_mov_b32 v[16:17], v[18:19], v[18:19] op_sel:[0,1]
	s_andn2_b64 exec, exec, s[6:7]
	s_cbranch_execnz .LBB6_2946
	s_branch .LBB6_2858
.LBB6_2947:
	s_mov_b64 s[6:7], 0
	s_branch .LBB6_2949
.LBB6_2948:
	s_mov_b64 s[6:7], -1
                                        ; implicit-def: $vgpr8_vgpr9
.LBB6_2949:
	s_and_b64 vcc, exec, s[6:7]
	s_cbranch_vccz .LBB6_2976
; %bb.2950:
	v_readfirstlane_b32 s6, v5
	v_cmp_eq_u32_e64 s[6:7], s6, v5
	v_pk_mov_b32 v[2:3], 0, 0
	s_and_saveexec_b64 s[12:13], s[6:7]
	s_cbranch_execz .LBB6_2956
; %bb.2951:
	s_waitcnt vmcnt(0)
	v_mov_b32_e32 v8, 0
	global_load_dwordx2 v[12:13], v8, s[10:11] offset:24 glc
	s_waitcnt vmcnt(0)
	buffer_invl2
	buffer_wbinvl1_vol
	global_load_dwordx2 v[2:3], v8, s[10:11] offset:40
	global_load_dwordx2 v[10:11], v8, s[10:11]
	s_waitcnt vmcnt(1)
	v_and_b32_e32 v2, v2, v12
	v_and_b32_e32 v3, v3, v13
	v_mul_lo_u32 v3, v3, 24
	v_mul_hi_u32 v9, v2, 24
	v_mul_lo_u32 v2, v2, 24
	v_add_u32_e32 v3, v9, v3
	s_waitcnt vmcnt(0)
	v_add_co_u32_e32 v2, vcc, v10, v2
	v_addc_co_u32_e32 v3, vcc, v11, v3, vcc
	global_load_dwordx2 v[10:11], v[2:3], off glc
	s_waitcnt vmcnt(0)
	global_atomic_cmpswap_x2 v[2:3], v8, v[10:13], s[10:11] offset:24 glc
	s_waitcnt vmcnt(0)
	buffer_invl2
	buffer_wbinvl1_vol
	v_cmp_ne_u64_e32 vcc, v[2:3], v[12:13]
	s_and_saveexec_b64 s[14:15], vcc
	s_cbranch_execz .LBB6_2955
; %bb.2952:
	s_mov_b64 s[16:17], 0
.LBB6_2953:                             ; =>This Inner Loop Header: Depth=1
	s_sleep 1
	global_load_dwordx2 v[10:11], v8, s[10:11] offset:40
	global_load_dwordx2 v[14:15], v8, s[10:11]
	v_pk_mov_b32 v[12:13], v[2:3], v[2:3] op_sel:[0,1]
	s_waitcnt vmcnt(1)
	v_and_b32_e32 v2, v10, v12
	s_waitcnt vmcnt(0)
	v_mad_u64_u32 v[2:3], s[18:19], v2, 24, v[14:15]
	v_and_b32_e32 v9, v11, v13
	v_mov_b32_e32 v10, v3
	v_mad_u64_u32 v[10:11], s[18:19], v9, 24, v[10:11]
	v_mov_b32_e32 v3, v10
	global_load_dwordx2 v[10:11], v[2:3], off glc
	s_waitcnt vmcnt(0)
	global_atomic_cmpswap_x2 v[2:3], v8, v[10:13], s[10:11] offset:24 glc
	s_waitcnt vmcnt(0)
	buffer_invl2
	buffer_wbinvl1_vol
	v_cmp_eq_u64_e32 vcc, v[2:3], v[12:13]
	s_or_b64 s[16:17], vcc, s[16:17]
	s_andn2_b64 exec, exec, s[16:17]
	s_cbranch_execnz .LBB6_2953
; %bb.2954:
	s_or_b64 exec, exec, s[16:17]
.LBB6_2955:
	s_or_b64 exec, exec, s[14:15]
.LBB6_2956:
	s_or_b64 exec, exec, s[12:13]
	s_waitcnt vmcnt(0)
	v_mov_b32_e32 v8, 0
	global_load_dwordx2 v[14:15], v8, s[10:11] offset:40
	global_load_dwordx4 v[10:13], v8, s[10:11]
	v_readfirstlane_b32 s12, v2
	v_readfirstlane_b32 s13, v3
	s_mov_b64 s[14:15], exec
	s_waitcnt vmcnt(1)
	v_readfirstlane_b32 s16, v14
	v_readfirstlane_b32 s17, v15
	s_and_b64 s[16:17], s[12:13], s[16:17]
	s_mul_i32 s18, s17, 24
	s_mul_hi_u32 s19, s16, 24
	s_mul_i32 s20, s16, 24
	s_add_i32 s18, s19, s18
	v_mov_b32_e32 v3, s18
	s_waitcnt vmcnt(0)
	v_add_co_u32_e32 v2, vcc, s20, v10
	v_addc_co_u32_e32 v3, vcc, v11, v3, vcc
	s_and_saveexec_b64 s[18:19], s[6:7]
	s_cbranch_execz .LBB6_2958
; %bb.2957:
	v_pk_mov_b32 v[14:15], s[14:15], s[14:15] op_sel:[0,1]
	v_mov_b32_e32 v16, 2
	v_mov_b32_e32 v17, 1
	global_store_dwordx4 v[2:3], v[14:17], off offset:8
.LBB6_2958:
	s_or_b64 exec, exec, s[18:19]
	s_lshl_b64 s[14:15], s[16:17], 12
	v_mov_b32_e32 v9, s15
	v_add_co_u32_e32 v14, vcc, s14, v12
	v_addc_co_u32_e32 v15, vcc, v13, v9, vcc
	s_movk_i32 s14, 0xff1f
	s_mov_b32 s16, 0
	v_and_or_b32 v6, v6, s14, 32
	v_mov_b32_e32 v9, v8
	v_readfirstlane_b32 s14, v14
	v_readfirstlane_b32 s15, v15
	s_mov_b32 s17, s16
	v_add_co_u32_e32 v12, vcc, v14, v39
	s_mov_b32 s18, s16
	s_mov_b32 s19, s16
	s_nop 0
	global_store_dwordx4 v39, v[6:9], s[14:15]
	v_addc_co_u32_e32 v13, vcc, 0, v15, vcc
	v_pk_mov_b32 v[6:7], s[16:17], s[16:17] op_sel:[0,1]
	v_pk_mov_b32 v[8:9], s[18:19], s[18:19] op_sel:[0,1]
	global_store_dwordx4 v39, v[6:9], s[14:15] offset:16
	global_store_dwordx4 v39, v[6:9], s[14:15] offset:32
	;; [unrolled: 1-line block ×3, first 2 shown]
	s_and_saveexec_b64 s[14:15], s[6:7]
	s_cbranch_execz .LBB6_2966
; %bb.2959:
	v_mov_b32_e32 v14, 0
	global_load_dwordx2 v[18:19], v14, s[10:11] offset:32 glc
	global_load_dwordx2 v[6:7], v14, s[10:11] offset:40
	v_mov_b32_e32 v16, s12
	v_mov_b32_e32 v17, s13
	s_waitcnt vmcnt(0)
	v_readfirstlane_b32 s16, v6
	v_readfirstlane_b32 s17, v7
	s_and_b64 s[16:17], s[16:17], s[12:13]
	s_mul_i32 s17, s17, 24
	s_mul_hi_u32 s18, s16, 24
	s_mul_i32 s16, s16, 24
	s_add_i32 s17, s18, s17
	v_mov_b32_e32 v6, s17
	v_add_co_u32_e32 v10, vcc, s16, v10
	v_addc_co_u32_e32 v11, vcc, v11, v6, vcc
	global_store_dwordx2 v[10:11], v[18:19], off
	buffer_wbl2
	s_waitcnt vmcnt(0)
	global_atomic_cmpswap_x2 v[8:9], v14, v[16:19], s[10:11] offset:32 glc
	s_waitcnt vmcnt(0)
	v_cmp_ne_u64_e32 vcc, v[8:9], v[18:19]
	s_and_saveexec_b64 s[16:17], vcc
	s_cbranch_execz .LBB6_2962
; %bb.2960:
	s_mov_b64 s[18:19], 0
.LBB6_2961:                             ; =>This Inner Loop Header: Depth=1
	s_sleep 1
	global_store_dwordx2 v[10:11], v[8:9], off
	v_mov_b32_e32 v6, s12
	v_mov_b32_e32 v7, s13
	buffer_wbl2
	s_waitcnt vmcnt(0)
	global_atomic_cmpswap_x2 v[6:7], v14, v[6:9], s[10:11] offset:32 glc
	s_waitcnt vmcnt(0)
	v_cmp_eq_u64_e32 vcc, v[6:7], v[8:9]
	s_or_b64 s[18:19], vcc, s[18:19]
	v_pk_mov_b32 v[8:9], v[6:7], v[6:7] op_sel:[0,1]
	s_andn2_b64 exec, exec, s[18:19]
	s_cbranch_execnz .LBB6_2961
.LBB6_2962:
	s_or_b64 exec, exec, s[16:17]
	v_mov_b32_e32 v9, 0
	global_load_dwordx2 v[6:7], v9, s[10:11] offset:16
	s_mov_b64 s[16:17], exec
	v_mbcnt_lo_u32_b32 v8, s16, 0
	v_mbcnt_hi_u32_b32 v8, s17, v8
	v_cmp_eq_u32_e32 vcc, 0, v8
	s_and_saveexec_b64 s[18:19], vcc
	s_cbranch_execz .LBB6_2964
; %bb.2963:
	s_bcnt1_i32_b64 s16, s[16:17]
	v_mov_b32_e32 v8, s16
	buffer_wbl2
	s_waitcnt vmcnt(0)
	global_atomic_add_x2 v[6:7], v[8:9], off offset:8
.LBB6_2964:
	s_or_b64 exec, exec, s[18:19]
	s_waitcnt vmcnt(0)
	global_load_dwordx2 v[8:9], v[6:7], off offset:16
	s_waitcnt vmcnt(0)
	v_cmp_eq_u64_e32 vcc, 0, v[8:9]
	s_cbranch_vccnz .LBB6_2966
; %bb.2965:
	global_load_dword v6, v[6:7], off offset:24
	v_mov_b32_e32 v7, 0
	buffer_wbl2
	s_waitcnt vmcnt(0)
	global_store_dwordx2 v[8:9], v[6:7], off
	v_and_b32_e32 v6, 0xffffff, v6
	v_readfirstlane_b32 m0, v6
	s_sendmsg sendmsg(MSG_INTERRUPT)
.LBB6_2966:
	s_or_b64 exec, exec, s[14:15]
	s_branch .LBB6_2968
.LBB6_2967:
	s_branch .LBB6_2972
.LBB6_2968:                             ; =>This Inner Loop Header: Depth=1
	v_mov_b32_e32 v6, 1
	s_and_saveexec_b64 s[14:15], s[6:7]
	s_cbranch_execz .LBB6_2970
; %bb.2969:                             ;   in Loop: Header=BB6_2968 Depth=1
	global_load_dword v6, v[2:3], off offset:20 glc
	s_waitcnt vmcnt(0)
	buffer_invl2
	buffer_wbinvl1_vol
	v_and_b32_e32 v6, 1, v6
.LBB6_2970:                             ;   in Loop: Header=BB6_2968 Depth=1
	s_or_b64 exec, exec, s[14:15]
	v_readfirstlane_b32 s14, v6
	s_cmp_eq_u32 s14, 0
	s_cbranch_scc1 .LBB6_2967
; %bb.2971:                             ;   in Loop: Header=BB6_2968 Depth=1
	s_sleep 1
	s_cbranch_execnz .LBB6_2968
.LBB6_2972:
	global_load_dwordx2 v[8:9], v[12:13], off
	s_and_saveexec_b64 s[14:15], s[6:7]
	s_cbranch_execz .LBB6_2975
; %bb.2973:
	v_mov_b32_e32 v6, 0
	global_load_dwordx2 v[2:3], v6, s[10:11] offset:40
	global_load_dwordx2 v[14:15], v6, s[10:11] offset:24 glc
	global_load_dwordx2 v[16:17], v6, s[10:11]
	v_mov_b32_e32 v7, s13
	s_mov_b64 s[6:7], 0
	s_waitcnt vmcnt(2)
	v_add_co_u32_e32 v13, vcc, 1, v2
	v_addc_co_u32_e32 v18, vcc, 0, v3, vcc
	v_add_co_u32_e32 v10, vcc, s12, v13
	v_addc_co_u32_e32 v11, vcc, v18, v7, vcc
	v_cmp_eq_u64_e32 vcc, 0, v[10:11]
	v_cndmask_b32_e32 v11, v11, v18, vcc
	v_cndmask_b32_e32 v10, v10, v13, vcc
	v_and_b32_e32 v3, v11, v3
	v_and_b32_e32 v2, v10, v2
	v_mul_lo_u32 v3, v3, 24
	v_mul_hi_u32 v7, v2, 24
	v_mul_lo_u32 v2, v2, 24
	v_add_u32_e32 v3, v7, v3
	s_waitcnt vmcnt(0)
	v_add_co_u32_e32 v2, vcc, v16, v2
	v_addc_co_u32_e32 v3, vcc, v17, v3, vcc
	v_mov_b32_e32 v12, v14
	global_store_dwordx2 v[2:3], v[14:15], off
	v_mov_b32_e32 v13, v15
	buffer_wbl2
	s_waitcnt vmcnt(0)
	global_atomic_cmpswap_x2 v[12:13], v6, v[10:13], s[10:11] offset:24 glc
	s_waitcnt vmcnt(0)
	v_cmp_ne_u64_e32 vcc, v[12:13], v[14:15]
	s_and_b64 exec, exec, vcc
	s_cbranch_execz .LBB6_2975
.LBB6_2974:                             ; =>This Inner Loop Header: Depth=1
	s_sleep 1
	global_store_dwordx2 v[2:3], v[12:13], off
	buffer_wbl2
	s_waitcnt vmcnt(0)
	global_atomic_cmpswap_x2 v[14:15], v6, v[10:13], s[10:11] offset:24 glc
	s_waitcnt vmcnt(0)
	v_cmp_eq_u64_e32 vcc, v[14:15], v[12:13]
	s_or_b64 s[6:7], vcc, s[6:7]
	v_pk_mov_b32 v[12:13], v[14:15], v[14:15] op_sel:[0,1]
	s_andn2_b64 exec, exec, s[6:7]
	s_cbranch_execnz .LBB6_2974
.LBB6_2975:
	s_or_b64 exec, exec, s[14:15]
.LBB6_2976:
	v_readfirstlane_b32 s6, v5
	v_cmp_eq_u32_e64 s[6:7], s6, v5
	v_pk_mov_b32 v[2:3], 0, 0
	s_and_saveexec_b64 s[12:13], s[6:7]
	s_cbranch_execz .LBB6_2982
; %bb.2977:
	s_waitcnt vmcnt(0)
	v_mov_b32_e32 v6, 0
	global_load_dwordx2 v[12:13], v6, s[10:11] offset:24 glc
	s_waitcnt vmcnt(0)
	buffer_invl2
	buffer_wbinvl1_vol
	global_load_dwordx2 v[2:3], v6, s[10:11] offset:40
	global_load_dwordx2 v[10:11], v6, s[10:11]
	s_waitcnt vmcnt(1)
	v_and_b32_e32 v2, v2, v12
	v_and_b32_e32 v3, v3, v13
	v_mul_lo_u32 v3, v3, 24
	v_mul_hi_u32 v7, v2, 24
	v_mul_lo_u32 v2, v2, 24
	v_add_u32_e32 v3, v7, v3
	s_waitcnt vmcnt(0)
	v_add_co_u32_e32 v2, vcc, v10, v2
	v_addc_co_u32_e32 v3, vcc, v11, v3, vcc
	global_load_dwordx2 v[10:11], v[2:3], off glc
	s_waitcnt vmcnt(0)
	global_atomic_cmpswap_x2 v[2:3], v6, v[10:13], s[10:11] offset:24 glc
	s_waitcnt vmcnt(0)
	buffer_invl2
	buffer_wbinvl1_vol
	v_cmp_ne_u64_e32 vcc, v[2:3], v[12:13]
	s_and_saveexec_b64 s[14:15], vcc
	s_cbranch_execz .LBB6_2981
; %bb.2978:
	s_mov_b64 s[16:17], 0
.LBB6_2979:                             ; =>This Inner Loop Header: Depth=1
	s_sleep 1
	global_load_dwordx2 v[10:11], v6, s[10:11] offset:40
	global_load_dwordx2 v[14:15], v6, s[10:11]
	v_pk_mov_b32 v[12:13], v[2:3], v[2:3] op_sel:[0,1]
	s_waitcnt vmcnt(1)
	v_and_b32_e32 v2, v10, v12
	s_waitcnt vmcnt(0)
	v_mad_u64_u32 v[2:3], s[18:19], v2, 24, v[14:15]
	v_and_b32_e32 v7, v11, v13
	v_mov_b32_e32 v10, v3
	v_mad_u64_u32 v[10:11], s[18:19], v7, 24, v[10:11]
	v_mov_b32_e32 v3, v10
	global_load_dwordx2 v[10:11], v[2:3], off glc
	s_waitcnt vmcnt(0)
	global_atomic_cmpswap_x2 v[2:3], v6, v[10:13], s[10:11] offset:24 glc
	s_waitcnt vmcnt(0)
	buffer_invl2
	buffer_wbinvl1_vol
	v_cmp_eq_u64_e32 vcc, v[2:3], v[12:13]
	s_or_b64 s[16:17], vcc, s[16:17]
	s_andn2_b64 exec, exec, s[16:17]
	s_cbranch_execnz .LBB6_2979
; %bb.2980:
	s_or_b64 exec, exec, s[16:17]
.LBB6_2981:
	s_or_b64 exec, exec, s[14:15]
.LBB6_2982:
	s_or_b64 exec, exec, s[12:13]
	s_waitcnt vmcnt(0)
	v_mov_b32_e32 v11, 0
	global_load_dwordx2 v[6:7], v11, s[10:11] offset:40
	global_load_dwordx4 v[12:15], v11, s[10:11]
	v_readfirstlane_b32 s12, v2
	v_readfirstlane_b32 s13, v3
	s_mov_b64 s[14:15], exec
	s_waitcnt vmcnt(1)
	v_readfirstlane_b32 s16, v6
	v_readfirstlane_b32 s17, v7
	s_and_b64 s[16:17], s[12:13], s[16:17]
	s_mul_i32 s18, s17, 24
	s_mul_hi_u32 s19, s16, 24
	s_mul_i32 s20, s16, 24
	s_add_i32 s18, s19, s18
	v_mov_b32_e32 v3, s18
	s_waitcnt vmcnt(0)
	v_add_co_u32_e32 v2, vcc, s20, v12
	v_addc_co_u32_e32 v3, vcc, v13, v3, vcc
	s_and_saveexec_b64 s[18:19], s[6:7]
	s_cbranch_execz .LBB6_2984
; %bb.2983:
	v_pk_mov_b32 v[16:17], s[14:15], s[14:15] op_sel:[0,1]
	v_mov_b32_e32 v18, 2
	v_mov_b32_e32 v19, 1
	global_store_dwordx4 v[2:3], v[16:19], off offset:8
.LBB6_2984:
	s_or_b64 exec, exec, s[18:19]
	s_lshl_b64 s[14:15], s[16:17], 12
	v_mov_b32_e32 v7, s15
	v_add_co_u32_e32 v6, vcc, s14, v14
	v_addc_co_u32_e32 v7, vcc, v15, v7, vcc
	s_mov_b32 s16, 0
	s_movk_i32 s14, 0xff1f
	v_and_or_b32 v8, v8, s14, 32
	v_add_co_u32_e32 v14, vcc, v6, v39
	v_mov_b32_e32 v10, v48
	v_readfirstlane_b32 s14, v6
	v_readfirstlane_b32 s15, v7
	s_mov_b32 s17, s16
	v_addc_co_u32_e32 v15, vcc, 0, v7, vcc
	s_mov_b32 s18, s16
	s_mov_b32 s19, s16
	s_nop 0
	global_store_dwordx4 v39, v[8:11], s[14:15]
	v_pk_mov_b32 v[6:7], s[16:17], s[16:17] op_sel:[0,1]
	v_pk_mov_b32 v[8:9], s[18:19], s[18:19] op_sel:[0,1]
	global_store_dwordx4 v39, v[6:9], s[14:15] offset:16
	global_store_dwordx4 v39, v[6:9], s[14:15] offset:32
	;; [unrolled: 1-line block ×3, first 2 shown]
	s_and_saveexec_b64 s[14:15], s[6:7]
	s_cbranch_execz .LBB6_2992
; %bb.2985:
	v_mov_b32_e32 v16, 0
	global_load_dwordx2 v[20:21], v16, s[10:11] offset:32 glc
	global_load_dwordx2 v[6:7], v16, s[10:11] offset:40
	v_mov_b32_e32 v18, s12
	v_mov_b32_e32 v19, s13
	s_waitcnt vmcnt(0)
	v_readfirstlane_b32 s16, v6
	v_readfirstlane_b32 s17, v7
	s_and_b64 s[16:17], s[16:17], s[12:13]
	s_mul_i32 s17, s17, 24
	s_mul_hi_u32 s18, s16, 24
	s_mul_i32 s16, s16, 24
	s_add_i32 s17, s18, s17
	v_mov_b32_e32 v6, s17
	v_add_co_u32_e32 v10, vcc, s16, v12
	v_addc_co_u32_e32 v11, vcc, v13, v6, vcc
	global_store_dwordx2 v[10:11], v[20:21], off
	buffer_wbl2
	s_waitcnt vmcnt(0)
	global_atomic_cmpswap_x2 v[8:9], v16, v[18:21], s[10:11] offset:32 glc
	s_waitcnt vmcnt(0)
	v_cmp_ne_u64_e32 vcc, v[8:9], v[20:21]
	s_and_saveexec_b64 s[16:17], vcc
	s_cbranch_execz .LBB6_2988
; %bb.2986:
	s_mov_b64 s[18:19], 0
.LBB6_2987:                             ; =>This Inner Loop Header: Depth=1
	s_sleep 1
	global_store_dwordx2 v[10:11], v[8:9], off
	v_mov_b32_e32 v6, s12
	v_mov_b32_e32 v7, s13
	buffer_wbl2
	s_waitcnt vmcnt(0)
	global_atomic_cmpswap_x2 v[6:7], v16, v[6:9], s[10:11] offset:32 glc
	s_waitcnt vmcnt(0)
	v_cmp_eq_u64_e32 vcc, v[6:7], v[8:9]
	s_or_b64 s[18:19], vcc, s[18:19]
	v_pk_mov_b32 v[8:9], v[6:7], v[6:7] op_sel:[0,1]
	s_andn2_b64 exec, exec, s[18:19]
	s_cbranch_execnz .LBB6_2987
.LBB6_2988:
	s_or_b64 exec, exec, s[16:17]
	v_mov_b32_e32 v9, 0
	global_load_dwordx2 v[6:7], v9, s[10:11] offset:16
	s_mov_b64 s[16:17], exec
	v_mbcnt_lo_u32_b32 v8, s16, 0
	v_mbcnt_hi_u32_b32 v8, s17, v8
	v_cmp_eq_u32_e32 vcc, 0, v8
	s_and_saveexec_b64 s[18:19], vcc
	s_cbranch_execz .LBB6_2990
; %bb.2989:
	s_bcnt1_i32_b64 s16, s[16:17]
	v_mov_b32_e32 v8, s16
	buffer_wbl2
	s_waitcnt vmcnt(0)
	global_atomic_add_x2 v[6:7], v[8:9], off offset:8
.LBB6_2990:
	s_or_b64 exec, exec, s[18:19]
	s_waitcnt vmcnt(0)
	global_load_dwordx2 v[8:9], v[6:7], off offset:16
	s_waitcnt vmcnt(0)
	v_cmp_eq_u64_e32 vcc, 0, v[8:9]
	s_cbranch_vccnz .LBB6_2992
; %bb.2991:
	global_load_dword v6, v[6:7], off offset:24
	v_mov_b32_e32 v7, 0
	buffer_wbl2
	s_waitcnt vmcnt(0)
	global_store_dwordx2 v[8:9], v[6:7], off
	v_and_b32_e32 v6, 0xffffff, v6
	v_readfirstlane_b32 m0, v6
	s_sendmsg sendmsg(MSG_INTERRUPT)
.LBB6_2992:
	s_or_b64 exec, exec, s[14:15]
	s_branch .LBB6_2994
.LBB6_2993:
	s_branch .LBB6_2998
.LBB6_2994:                             ; =>This Inner Loop Header: Depth=1
	v_mov_b32_e32 v6, 1
	s_and_saveexec_b64 s[14:15], s[6:7]
	s_cbranch_execz .LBB6_2996
; %bb.2995:                             ;   in Loop: Header=BB6_2994 Depth=1
	global_load_dword v6, v[2:3], off offset:20 glc
	s_waitcnt vmcnt(0)
	buffer_invl2
	buffer_wbinvl1_vol
	v_and_b32_e32 v6, 1, v6
.LBB6_2996:                             ;   in Loop: Header=BB6_2994 Depth=1
	s_or_b64 exec, exec, s[14:15]
	v_readfirstlane_b32 s14, v6
	s_cmp_eq_u32 s14, 0
	s_cbranch_scc1 .LBB6_2993
; %bb.2997:                             ;   in Loop: Header=BB6_2994 Depth=1
	s_sleep 1
	s_cbranch_execnz .LBB6_2994
.LBB6_2998:
	global_load_dwordx2 v[2:3], v[14:15], off
	s_and_saveexec_b64 s[14:15], s[6:7]
	s_cbranch_execz .LBB6_3001
; %bb.2999:
	v_mov_b32_e32 v12, 0
	global_load_dwordx2 v[10:11], v12, s[10:11] offset:40
	global_load_dwordx2 v[14:15], v12, s[10:11] offset:24 glc
	global_load_dwordx2 v[16:17], v12, s[10:11]
	v_mov_b32_e32 v7, s13
	s_mov_b64 s[6:7], 0
	s_waitcnt vmcnt(2)
	v_add_co_u32_e32 v9, vcc, 1, v10
	v_addc_co_u32_e32 v13, vcc, 0, v11, vcc
	v_add_co_u32_e32 v6, vcc, s12, v9
	v_addc_co_u32_e32 v7, vcc, v13, v7, vcc
	v_cmp_eq_u64_e32 vcc, 0, v[6:7]
	v_cndmask_b32_e32 v7, v7, v13, vcc
	v_cndmask_b32_e32 v6, v6, v9, vcc
	v_and_b32_e32 v9, v7, v11
	v_and_b32_e32 v10, v6, v10
	v_mul_lo_u32 v9, v9, 24
	v_mul_hi_u32 v11, v10, 24
	v_mul_lo_u32 v10, v10, 24
	v_add_u32_e32 v9, v11, v9
	s_waitcnt vmcnt(0)
	v_add_co_u32_e32 v10, vcc, v16, v10
	v_addc_co_u32_e32 v11, vcc, v17, v9, vcc
	v_mov_b32_e32 v8, v14
	global_store_dwordx2 v[10:11], v[14:15], off
	v_mov_b32_e32 v9, v15
	buffer_wbl2
	s_waitcnt vmcnt(0)
	global_atomic_cmpswap_x2 v[8:9], v12, v[6:9], s[10:11] offset:24 glc
	s_waitcnt vmcnt(0)
	v_cmp_ne_u64_e32 vcc, v[8:9], v[14:15]
	s_and_b64 exec, exec, vcc
	s_cbranch_execz .LBB6_3001
.LBB6_3000:                             ; =>This Inner Loop Header: Depth=1
	s_sleep 1
	global_store_dwordx2 v[10:11], v[8:9], off
	buffer_wbl2
	s_waitcnt vmcnt(0)
	global_atomic_cmpswap_x2 v[14:15], v12, v[6:9], s[10:11] offset:24 glc
	s_waitcnt vmcnt(0)
	v_cmp_eq_u64_e32 vcc, v[14:15], v[8:9]
	s_or_b64 s[6:7], vcc, s[6:7]
	v_pk_mov_b32 v[8:9], v[14:15], v[14:15] op_sel:[0,1]
	s_andn2_b64 exec, exec, s[6:7]
	s_cbranch_execnz .LBB6_3000
.LBB6_3001:
	s_or_b64 exec, exec, s[14:15]
	v_readfirstlane_b32 s6, v5
	v_cmp_eq_u32_e64 s[6:7], s6, v5
	v_pk_mov_b32 v[10:11], 0, 0
	s_and_saveexec_b64 s[12:13], s[6:7]
	s_cbranch_execz .LBB6_3007
; %bb.3002:
	v_mov_b32_e32 v5, 0
	global_load_dwordx2 v[8:9], v5, s[10:11] offset:24 glc
	s_waitcnt vmcnt(0)
	buffer_invl2
	buffer_wbinvl1_vol
	global_load_dwordx2 v[6:7], v5, s[10:11] offset:40
	global_load_dwordx2 v[10:11], v5, s[10:11]
	s_waitcnt vmcnt(1)
	v_and_b32_e32 v6, v6, v8
	v_and_b32_e32 v7, v7, v9
	v_mul_lo_u32 v7, v7, 24
	v_mul_hi_u32 v12, v6, 24
	v_mul_lo_u32 v6, v6, 24
	v_add_u32_e32 v7, v12, v7
	s_waitcnt vmcnt(0)
	v_add_co_u32_e32 v6, vcc, v10, v6
	v_addc_co_u32_e32 v7, vcc, v11, v7, vcc
	global_load_dwordx2 v[6:7], v[6:7], off glc
	s_waitcnt vmcnt(0)
	global_atomic_cmpswap_x2 v[10:11], v5, v[6:9], s[10:11] offset:24 glc
	s_waitcnt vmcnt(0)
	buffer_invl2
	buffer_wbinvl1_vol
	v_cmp_ne_u64_e32 vcc, v[10:11], v[8:9]
	s_and_saveexec_b64 s[14:15], vcc
	s_cbranch_execz .LBB6_3006
; %bb.3003:
	s_mov_b64 s[16:17], 0
.LBB6_3004:                             ; =>This Inner Loop Header: Depth=1
	s_sleep 1
	global_load_dwordx2 v[6:7], v5, s[10:11] offset:40
	global_load_dwordx2 v[12:13], v5, s[10:11]
	v_pk_mov_b32 v[8:9], v[10:11], v[10:11] op_sel:[0,1]
	s_waitcnt vmcnt(1)
	v_and_b32_e32 v6, v6, v8
	v_and_b32_e32 v11, v7, v9
	s_waitcnt vmcnt(0)
	v_mad_u64_u32 v[6:7], s[18:19], v6, 24, v[12:13]
	v_mov_b32_e32 v10, v7
	v_mad_u64_u32 v[10:11], s[18:19], v11, 24, v[10:11]
	v_mov_b32_e32 v7, v10
	global_load_dwordx2 v[6:7], v[6:7], off glc
	s_waitcnt vmcnt(0)
	global_atomic_cmpswap_x2 v[10:11], v5, v[6:9], s[10:11] offset:24 glc
	s_waitcnt vmcnt(0)
	buffer_invl2
	buffer_wbinvl1_vol
	v_cmp_eq_u64_e32 vcc, v[10:11], v[8:9]
	s_or_b64 s[16:17], vcc, s[16:17]
	s_andn2_b64 exec, exec, s[16:17]
	s_cbranch_execnz .LBB6_3004
; %bb.3005:
	s_or_b64 exec, exec, s[16:17]
.LBB6_3006:
	s_or_b64 exec, exec, s[14:15]
.LBB6_3007:
	s_or_b64 exec, exec, s[12:13]
	v_mov_b32_e32 v5, 0
	global_load_dwordx2 v[12:13], v5, s[10:11] offset:40
	global_load_dwordx4 v[6:9], v5, s[10:11]
	v_readfirstlane_b32 s12, v10
	v_readfirstlane_b32 s13, v11
	s_mov_b64 s[14:15], exec
	s_waitcnt vmcnt(1)
	v_readfirstlane_b32 s16, v12
	v_readfirstlane_b32 s17, v13
	s_and_b64 s[16:17], s[12:13], s[16:17]
	s_mul_i32 s18, s17, 24
	s_mul_hi_u32 s19, s16, 24
	s_mul_i32 s20, s16, 24
	s_add_i32 s18, s19, s18
	v_mov_b32_e32 v11, s18
	s_waitcnt vmcnt(0)
	v_add_co_u32_e32 v10, vcc, s20, v6
	v_addc_co_u32_e32 v11, vcc, v7, v11, vcc
	s_and_saveexec_b64 s[18:19], s[6:7]
	s_cbranch_execz .LBB6_3009
; %bb.3008:
	v_pk_mov_b32 v[12:13], s[14:15], s[14:15] op_sel:[0,1]
	v_mov_b32_e32 v14, 2
	v_mov_b32_e32 v15, 1
	global_store_dwordx4 v[10:11], v[12:15], off offset:8
.LBB6_3009:
	s_or_b64 exec, exec, s[18:19]
	s_lshl_b64 s[14:15], s[16:17], 12
	v_mov_b32_e32 v12, s15
	v_add_co_u32_e32 v8, vcc, s14, v8
	v_addc_co_u32_e32 v9, vcc, v9, v12, vcc
	s_movk_i32 s14, 0xff1d
	s_mov_b32 s16, 0
	v_and_or_b32 v2, v2, s14, 34
	v_readfirstlane_b32 s14, v8
	v_readfirstlane_b32 s15, v9
	s_mov_b32 s17, s16
	s_mov_b32 s18, s16
	;; [unrolled: 1-line block ×3, first 2 shown]
	s_nop 1
	global_store_dwordx4 v39, v[2:5], s[14:15]
	s_nop 0
	v_pk_mov_b32 v[2:3], s[16:17], s[16:17] op_sel:[0,1]
	v_pk_mov_b32 v[4:5], s[18:19], s[18:19] op_sel:[0,1]
	global_store_dwordx4 v39, v[2:5], s[14:15] offset:16
	global_store_dwordx4 v39, v[2:5], s[14:15] offset:32
	global_store_dwordx4 v39, v[2:5], s[14:15] offset:48
	s_and_saveexec_b64 s[14:15], s[6:7]
	s_cbranch_execz .LBB6_3017
; %bb.3010:
	v_mov_b32_e32 v8, 0
	global_load_dwordx2 v[14:15], v8, s[10:11] offset:32 glc
	global_load_dwordx2 v[2:3], v8, s[10:11] offset:40
	v_mov_b32_e32 v12, s12
	v_mov_b32_e32 v13, s13
	s_waitcnt vmcnt(0)
	v_readfirstlane_b32 s16, v2
	v_readfirstlane_b32 s17, v3
	s_and_b64 s[16:17], s[16:17], s[12:13]
	s_mul_i32 s17, s17, 24
	s_mul_hi_u32 s18, s16, 24
	s_mul_i32 s16, s16, 24
	s_add_i32 s17, s18, s17
	v_mov_b32_e32 v2, s17
	v_add_co_u32_e32 v6, vcc, s16, v6
	v_addc_co_u32_e32 v7, vcc, v7, v2, vcc
	global_store_dwordx2 v[6:7], v[14:15], off
	buffer_wbl2
	s_waitcnt vmcnt(0)
	global_atomic_cmpswap_x2 v[4:5], v8, v[12:15], s[10:11] offset:32 glc
	s_waitcnt vmcnt(0)
	v_cmp_ne_u64_e32 vcc, v[4:5], v[14:15]
	s_and_saveexec_b64 s[16:17], vcc
	s_cbranch_execz .LBB6_3013
; %bb.3011:
	s_mov_b64 s[18:19], 0
.LBB6_3012:                             ; =>This Inner Loop Header: Depth=1
	s_sleep 1
	global_store_dwordx2 v[6:7], v[4:5], off
	v_mov_b32_e32 v2, s12
	v_mov_b32_e32 v3, s13
	buffer_wbl2
	s_waitcnt vmcnt(0)
	global_atomic_cmpswap_x2 v[2:3], v8, v[2:5], s[10:11] offset:32 glc
	s_waitcnt vmcnt(0)
	v_cmp_eq_u64_e32 vcc, v[2:3], v[4:5]
	s_or_b64 s[18:19], vcc, s[18:19]
	v_pk_mov_b32 v[4:5], v[2:3], v[2:3] op_sel:[0,1]
	s_andn2_b64 exec, exec, s[18:19]
	s_cbranch_execnz .LBB6_3012
.LBB6_3013:
	s_or_b64 exec, exec, s[16:17]
	v_mov_b32_e32 v5, 0
	global_load_dwordx2 v[2:3], v5, s[10:11] offset:16
	s_mov_b64 s[16:17], exec
	v_mbcnt_lo_u32_b32 v4, s16, 0
	v_mbcnt_hi_u32_b32 v4, s17, v4
	v_cmp_eq_u32_e32 vcc, 0, v4
	s_and_saveexec_b64 s[18:19], vcc
	s_cbranch_execz .LBB6_3015
; %bb.3014:
	s_bcnt1_i32_b64 s16, s[16:17]
	v_mov_b32_e32 v4, s16
	buffer_wbl2
	s_waitcnt vmcnt(0)
	global_atomic_add_x2 v[2:3], v[4:5], off offset:8
.LBB6_3015:
	s_or_b64 exec, exec, s[18:19]
	s_waitcnt vmcnt(0)
	global_load_dwordx2 v[4:5], v[2:3], off offset:16
	s_waitcnt vmcnt(0)
	v_cmp_eq_u64_e32 vcc, 0, v[4:5]
	s_cbranch_vccnz .LBB6_3017
; %bb.3016:
	global_load_dword v2, v[2:3], off offset:24
	v_mov_b32_e32 v3, 0
	buffer_wbl2
	s_waitcnt vmcnt(0)
	global_store_dwordx2 v[4:5], v[2:3], off
	v_and_b32_e32 v2, 0xffffff, v2
	v_readfirstlane_b32 m0, v2
	s_sendmsg sendmsg(MSG_INTERRUPT)
.LBB6_3017:
	s_or_b64 exec, exec, s[14:15]
	s_branch .LBB6_3019
.LBB6_3018:
	s_branch .LBB6_3023
.LBB6_3019:                             ; =>This Inner Loop Header: Depth=1
	v_mov_b32_e32 v2, 1
	s_and_saveexec_b64 s[14:15], s[6:7]
	s_cbranch_execz .LBB6_3021
; %bb.3020:                             ;   in Loop: Header=BB6_3019 Depth=1
	global_load_dword v2, v[10:11], off offset:20 glc
	s_waitcnt vmcnt(0)
	buffer_invl2
	buffer_wbinvl1_vol
	v_and_b32_e32 v2, 1, v2
.LBB6_3021:                             ;   in Loop: Header=BB6_3019 Depth=1
	s_or_b64 exec, exec, s[14:15]
	v_readfirstlane_b32 s14, v2
	s_cmp_eq_u32 s14, 0
	s_cbranch_scc1 .LBB6_3018
; %bb.3022:                             ;   in Loop: Header=BB6_3019 Depth=1
	s_sleep 1
	s_cbranch_execnz .LBB6_3019
.LBB6_3023:
	s_and_b64 exec, exec, s[6:7]
	s_cbranch_execz .LBB6_3026
; %bb.3024:
	v_mov_b32_e32 v8, 0
	global_load_dwordx2 v[6:7], v8, s[10:11] offset:40
	global_load_dwordx2 v[10:11], v8, s[10:11] offset:24 glc
	global_load_dwordx2 v[12:13], v8, s[10:11]
	v_mov_b32_e32 v3, s13
	s_mov_b64 s[6:7], 0
	s_waitcnt vmcnt(2)
	v_add_co_u32_e32 v5, vcc, 1, v6
	v_addc_co_u32_e32 v9, vcc, 0, v7, vcc
	v_add_co_u32_e32 v2, vcc, s12, v5
	v_addc_co_u32_e32 v3, vcc, v9, v3, vcc
	v_cmp_eq_u64_e32 vcc, 0, v[2:3]
	v_cndmask_b32_e32 v3, v3, v9, vcc
	v_cndmask_b32_e32 v2, v2, v5, vcc
	v_and_b32_e32 v5, v3, v7
	v_and_b32_e32 v6, v2, v6
	v_mul_lo_u32 v5, v5, 24
	v_mul_hi_u32 v7, v6, 24
	v_mul_lo_u32 v6, v6, 24
	v_add_u32_e32 v5, v7, v5
	s_waitcnt vmcnt(0)
	v_add_co_u32_e32 v6, vcc, v12, v6
	v_addc_co_u32_e32 v7, vcc, v13, v5, vcc
	v_mov_b32_e32 v4, v10
	global_store_dwordx2 v[6:7], v[10:11], off
	v_mov_b32_e32 v5, v11
	buffer_wbl2
	s_waitcnt vmcnt(0)
	global_atomic_cmpswap_x2 v[4:5], v8, v[2:5], s[10:11] offset:24 glc
	s_waitcnt vmcnt(0)
	v_cmp_ne_u64_e32 vcc, v[4:5], v[10:11]
	s_and_b64 exec, exec, vcc
	s_cbranch_execz .LBB6_3026
.LBB6_3025:                             ; =>This Inner Loop Header: Depth=1
	s_sleep 1
	global_store_dwordx2 v[6:7], v[4:5], off
	buffer_wbl2
	s_waitcnt vmcnt(0)
	global_atomic_cmpswap_x2 v[10:11], v8, v[2:5], s[10:11] offset:24 glc
	s_waitcnt vmcnt(0)
	v_cmp_eq_u64_e32 vcc, v[10:11], v[4:5]
	s_or_b64 s[6:7], vcc, s[6:7]
	v_pk_mov_b32 v[4:5], v[10:11], v[10:11] op_sel:[0,1]
	s_andn2_b64 exec, exec, s[6:7]
	s_cbranch_execnz .LBB6_3025
.LBB6_3026:
	s_or_b64 exec, exec, s[8:9]
	v_or_b32_e32 v0, v0, v40
	v_cmp_lt_i32_e32 vcc, -1, v0
	s_xor_b64 s[4:5], s[4:5], -1
	s_and_b64 s[4:5], vcc, s[4:5]
	s_mov_b64 s[82:83], 0
                                        ; implicit-def: $vgpr40
	s_and_saveexec_b64 s[6:7], s[4:5]
	s_xor_b64 s[4:5], exec, s[6:7]
	s_cbranch_execz .LBB6_3028
; %bb.3027:
	flat_load_dword v2, v[46:47]
	v_lshl_or_b32 v0, v38, 1, 1
	s_mov_b64 s[82:83], exec
	s_waitcnt vmcnt(0) lgkmcnt(0)
	v_ashrrev_i32_e32 v3, 31, v2
	v_add_u32_e32 v4, 1, v2
	flat_store_dword v[46:47], v4
	v_lshlrev_b64 v[4:5], 3, v[2:3]
	v_add_co_u32_e32 v4, vcc, v46, v4
	v_addc_co_u32_e32 v5, vcc, v47, v5, vcc
	flat_store_dwordx2 v[4:5], v[0:1] offset:8
	v_lshl_or_b32 v40, v2, 1, 1
.LBB6_3028:
	s_or_saveexec_b64 s[66:67], s[4:5]
	s_mov_b64 s[4:5], s[26:27]
	s_xor_b64 exec, exec, s[66:67]
	s_cbranch_execz .LBB6_3030
; %bb.3029:
	s_getpc_b64 s[4:5]
	s_add_u32 s4, s4, .str.46@rel32@lo+4
	s_addc_u32 s5, s5, .str.46@rel32@hi+12
	s_getpc_b64 s[6:7]
	s_add_u32 s6, s6, .str.44@rel32@lo+4
	s_addc_u32 s7, s7, .str.44@rel32@hi+12
	s_getpc_b64 s[10:11]
	s_add_u32 s10, s10, __PRETTY_FUNCTION__._ZN8subgUtil18formAndNodeKeyFlagEiii@rel32@lo+4
	s_addc_u32 s11, s11, __PRETTY_FUNCTION__._ZN8subgUtil18formAndNodeKeyFlagEiii@rel32@hi+12
	s_mov_b64 s[8:9], s[48:49]
	v_mov_b32_e32 v0, s4
	v_mov_b32_e32 v1, s5
	;; [unrolled: 1-line block ×7, first 2 shown]
	s_getpc_b64 s[12:13]
	s_add_u32 s12, s12, __assert_fail@rel32@lo+4
	s_addc_u32 s13, s13, __assert_fail@rel32@hi+12
	s_swappc_b64 s[30:31], s[12:13]
	s_or_b64 s[4:5], s[26:27], exec
                                        ; implicit-def: $vgpr40
.LBB6_3030:
	s_or_b64 exec, exec, s[66:67]
	s_andn2_b64 s[6:7], s[26:27], exec
	s_and_b64 s[4:5], s[4:5], exec
	s_or_b64 s[26:27], s[6:7], s[4:5]
	s_and_b64 s[4:5], s[82:83], exec
.LBB6_3031:
	s_or_b64 exec, exec, s[28:29]
	v_readlane_b32 s6, v62, 10
	v_readlane_b32 s7, v62, 11
	s_andn2_b64 s[6:7], s[6:7], exec
	s_and_b64 s[8:9], s[26:27], exec
	s_or_b64 s[6:7], s[6:7], s[8:9]
	s_orn2_b64 s[4:5], s[4:5], exec
.LBB6_3032:
	s_or_b64 exec, exec, s[80:81]
	v_readlane_b32 s8, v62, 10
	v_readlane_b32 s9, v62, 11
	s_andn2_b64 s[8:9], s[8:9], exec
	s_and_b64 s[6:7], s[6:7], exec
	s_or_b64 s[28:29], s[8:9], s[6:7]
	v_readlane_b32 s6, v62, 12
	v_readlane_b32 s7, v62, 13
	s_andn2_b64 s[6:7], s[6:7], exec
	s_and_b64 s[4:5], s[4:5], exec
	s_or_b64 s[26:27], s[6:7], s[4:5]
.LBB6_3033:
	s_andn2_saveexec_b64 s[44:45], s[44:45]
	s_cbranch_execz .LBB6_3035
; %bb.3034:
	s_getpc_b64 s[4:5]
	s_add_u32 s4, s4, .str.46@rel32@lo+4
	s_addc_u32 s5, s5, .str.46@rel32@hi+12
	s_getpc_b64 s[6:7]
	s_add_u32 s6, s6, .str.44@rel32@lo+4
	s_addc_u32 s7, s7, .str.44@rel32@hi+12
	s_getpc_b64 s[10:11]
	s_add_u32 s10, s10, __PRETTY_FUNCTION__._ZN8subgUtil18formAndNodeKeyFlagEiii@rel32@lo+4
	s_addc_u32 s11, s11, __PRETTY_FUNCTION__._ZN8subgUtil18formAndNodeKeyFlagEiii@rel32@hi+12
	s_mov_b64 s[8:9], s[48:49]
	v_mov_b32_e32 v0, s4
	v_mov_b32_e32 v1, s5
	;; [unrolled: 1-line block ×7, first 2 shown]
	s_getpc_b64 s[12:13]
	s_add_u32 s12, s12, __assert_fail@rel32@lo+4
	s_addc_u32 s13, s13, __assert_fail@rel32@hi+12
	s_swappc_b64 s[30:31], s[12:13]
	s_or_b64 s[28:29], s[28:29], exec
                                        ; implicit-def: $vgpr40
.LBB6_3035:
	s_or_b64 exec, exec, s[44:45]
	v_readlane_b32 s4, v62, 10
	v_readlane_b32 s5, v62, 11
	;; [unrolled: 1-line block ×3, first 2 shown]
	s_andn2_b64 s[4:5], s[4:5], exec
	s_and_b64 s[6:7], s[28:29], exec
	v_readlane_b32 s45, v62, 13
	s_or_b64 s[4:5], s[4:5], s[6:7]
	s_andn2_b64 s[6:7], s[44:45], exec
	s_and_b64 s[8:9], s[26:27], exec
	s_or_b64 s[8:9], s[6:7], s[8:9]
	v_readlane_b32 s80, v62, 14
	v_readlane_b32 s6, v62, 16
	;; [unrolled: 1-line block ×4, first 2 shown]
.LBB6_3036:
	s_or_b64 exec, exec, s[6:7]
	s_andn2_b64 s[6:7], s[80:81], exec
	s_and_b64 s[4:5], s[4:5], exec
	s_or_b64 s[80:81], s[6:7], s[4:5]
	s_andn2_b64 s[4:5], s[44:45], exec
	s_and_b64 s[6:7], s[8:9], exec
	v_readlane_b32 s8, v62, 18
	v_readlane_b32 s10, v62, 20
	;; [unrolled: 1-line block ×3, first 2 shown]
	s_or_b64 s[44:45], s[4:5], s[6:7]
	s_mov_b64 s[28:29], s[38:39]
	s_mov_b64 s[38:39], 0
	;; [unrolled: 1-line block ×4, first 2 shown]
	v_readlane_b32 s9, v62, 19
	v_readlane_b32 s11, v62, 21
	;; [unrolled: 1-line block ×3, first 2 shown]
.LBB6_3037:
	s_or_b64 exec, exec, s[68:69]
	s_andn2_b64 s[4:5], s[10:11], exec
	s_and_b64 s[10:11], s[80:81], exec
	s_or_b64 s[10:11], s[4:5], s[10:11]
	s_and_b64 s[4:5], s[44:45], exec
.LBB6_3038:
	s_or_b64 exec, exec, s[14:15]
	s_andn2_b64 s[6:7], s[70:71], exec
	s_and_b64 s[10:11], s[10:11], exec
	s_or_b64 s[70:71], s[6:7], s[10:11]
	s_and_b64 s[10:11], s[4:5], exec
.LBB6_3039:
	s_or_b64 exec, exec, s[8:9]
	s_andn2_b64 s[4:5], s[26:27], exec
	s_and_b64 s[6:7], s[70:71], exec
	s_or_b64 s[66:67], s[4:5], s[6:7]
	s_and_b64 s[44:45], s[10:11], exec
	s_or_b64 exec, exec, s[74:75]
	s_and_saveexec_b64 s[4:5], s[72:73]
	s_xor_b64 s[68:69], exec, s[4:5]
	s_cbranch_execnz .LBB6_793
	s_branch .LBB6_794
.Lfunc_end6:
	.size	_ZN3sop12sopFactorRecEPNS_3SopEiP7VecsMemIjLi8192EEPN8subgUtil4SubgILi256EEE, .Lfunc_end6-_ZN3sop12sopFactorRecEPNS_3SopEiP7VecsMemIjLi8192EEPN8subgUtil4SubgILi256EEE
                                        ; -- End function
	.section	.AMDGPU.csdata,"",@progbits
; Function info:
; codeLenInByte = 112176
; NumSgprs: 98
; NumVgprs: 64
; NumAgprs: 38
; TotalNumVgprs: 102
; ScratchSize: 352
; MemoryBound: 0
	.text
	.protected	_Z8resynCutPKiS0_S0_S0_PKyPKjiS0_PyPiS6_S6_PjS0_S4_ii ; -- Begin function _Z8resynCutPKiS0_S0_S0_PKyPKjiS0_PyPiS6_S6_PjS0_S4_ii
	.globl	_Z8resynCutPKiS0_S0_S0_PKyPKjiS0_PyPiS6_S6_PjS0_S4_ii
	.p2align	8
	.type	_Z8resynCutPKiS0_S0_S0_PKyPKjiS0_PyPiS6_S6_PjS0_S4_ii,@function
_Z8resynCutPKiS0_S0_S0_PKyPKjiS0_PyPiS6_S6_PjS0_S4_ii: ; @_Z8resynCutPKiS0_S0_S0_PKyPKjiS0_PyPiS6_S6_PjS0_S4_ii
; %bb.0:
	s_add_u32 flat_scratch_lo, s8, s11
	s_load_dword s33, s[6:7], 0x7c
	s_load_dword s8, s[6:7], 0x8c
	s_addc_u32 flat_scratch_hi, s9, 0
	s_add_u32 s0, s0, s11
	s_addc_u32 s1, s1, 0
                                        ; implicit-def: $vgpr120 : SGPR spill to VGPR lane
	s_add_u32 s12, s6, 0x80
	v_writelane_b32 v120, s6, 0
	v_mov_b32_e32 v2, 0x1010
	v_writelane_b32 v120, s7, 1
	s_addc_u32 s13, s7, 0
	s_waitcnt lgkmcnt(0)
	s_and_b32 s11, s8, 0xffff
	v_add_u32_e32 v41, 4, v2
	v_and_b32_e32 v2, 0x3ff, v0
	v_writelane_b32 v120, s12, 2
	s_mul_i32 s10, s10, s11
	v_mov_b32_e32 v77, 0
	v_mov_b32_e32 v3, 0x9038
	;; [unrolled: 1-line block ×3, first 2 shown]
	v_writelane_b32 v120, s13, 3
	v_add_u32_e32 v74, s10, v2
	buffer_store_dword v77, v3, s[0:3], 0 offen
	v_mov_b32_e32 v3, 0x9038
	s_mov_b64 s[8:9], -1
	s_mov_b64 s[6:7], 0
	s_mov_b64 s[82:83], 0
	;; [unrolled: 1-line block ×28, first 2 shown]
	s_mov_b32 s32, 0x281400
	buffer_store_dword v77, v41, s[0:3], 0 offen offset:28
	buffer_store_dword v77, v3, s[0:3], 0 offen offset:2056
	v_cmp_gt_i32_e32 vcc, s33, v74
	s_mov_b64 s[12:13], exec
	v_writelane_b32 v120, s12, 4
	v_writelane_b32 v120, s13, 5
	s_and_b64 s[12:13], s[12:13], vcc
	s_mov_b64 exec, s[12:13]
	s_cbranch_execz .LBB7_341
; %bb.1:
	v_readlane_b32 s8, v120, 0
	v_readlane_b32 s9, v120, 1
	s_load_dword s12, s[8:9], 0x30
	s_load_dwordx2 s[6:7], s[4:5], 0x4
	s_load_dwordx8 s[16:23], s[8:9], 0x0
	s_load_dwordx4 s[24:27], s[8:9], 0x20
                                        ; kill: killed $sgpr4_sgpr5
	v_bfe_u32 v3, v0, 10, 10
	s_waitcnt lgkmcnt(0)
	s_ashr_i32 s13, s12, 31
	s_lshr_b32 s4, s6, 16
	s_mul_i32 s4, s4, s7
	v_writelane_b32 v120, s24, 6
	v_writelane_b32 v120, s25, 7
	v_writelane_b32 v120, s26, 8
	v_writelane_b32 v120, s27, 9
	v_writelane_b32 v120, s12, 10
	v_writelane_b32 v120, s13, 11
	v_mul_lo_u32 v2, s4, v2
	v_readlane_b32 s4, v120, 2
	v_readlane_b32 s5, v120, 3
	s_load_dword s4, s[4:5], 0x0
	v_mad_u32_u24 v2, v3, s7, v2
	s_mov_b64 s[6:7], src_private_base
	s_mov_b32 s5, s7
	v_writelane_b32 v120, s5, 12
	v_writelane_b32 v120, s5, 13
	s_waitcnt lgkmcnt(0)
	s_mul_i32 s4, s4, s11
	v_writelane_b32 v120, s4, 14
	s_mov_b64 s[4:5], src_shared_base
	s_mov_b32 s4, s7
	s_load_dwordx2 s[6:7], s[8:9], 0x68
	s_load_dwordx4 s[12:15], s[8:9], 0x58
	v_writelane_b32 v120, s4, 15
	v_writelane_b32 v120, s4, 16
	s_lshl_b32 s4, s33, 1
	s_add_i32 s4, s4, -1
	v_writelane_b32 v120, s4, 17
	s_waitcnt lgkmcnt(0)
	v_writelane_b32 v120, s12, 18
	v_writelane_b32 v120, s13, 19
	;; [unrolled: 1-line block ×4, first 2 shown]
	s_add_u32 s4, s6, -4
	v_writelane_b32 v120, s4, 22
	s_addc_u32 s4, s7, -1
	v_mov_b32_e32 v79, s5
	v_mov_b32_e32 v89, s5
	v_writelane_b32 v120, s4, 23
	s_mov_b64 s[4:5], 0
	v_writelane_b32 v120, s4, 24
	v_writelane_b32 v120, s5, 25
	v_mov_b32_e32 v46, s17
	v_mov_b32_e32 v47, s21
	v_writelane_b32 v120, s16, 26
	v_writelane_b32 v120, s17, 27
	;; [unrolled: 1-line block ×8, first 2 shown]
	s_mov_b32 s4, s6
	v_writelane_b32 v120, s4, 34
	v_writelane_b32 v120, s5, 35
                                        ; implicit-def: $sgpr4_sgpr5
                                        ; kill: killed $sgpr4_sgpr5
                                        ; implicit-def: $sgpr4_sgpr5
                                        ; kill: killed $sgpr4_sgpr5
	;; [unrolled: 2-line block ×28, first 2 shown]
                                        ; implicit-def: $sgpr4_sgpr5
	v_mov_b32_e32 v57, s7
                                        ; kill: killed $sgpr4_sgpr5
	s_load_dwordx8 s[4:11], s[8:9], 0x38
	v_bfe_u32 v0, v0, 20, 10
	v_add_lshl_u32 v78, v2, v0, 4
	v_mov_b32_e32 v42, 0x1030
	v_mov_b32_e32 v0, 0x9840
	s_waitcnt lgkmcnt(0)
	v_writelane_b32 v120, s4, 36
	v_writelane_b32 v120, s5, 37
	v_writelane_b32 v120, s6, 38
	v_writelane_b32 v120, s7, 39
	v_writelane_b32 v120, s8, 40
	v_writelane_b32 v120, s9, 41
	v_writelane_b32 v120, s10, 42
	v_writelane_b32 v120, s11, 43
	v_add_u32_e32 v88, 0x4000, v78
	v_add_u32_e32 v43, 4, v42
	;; [unrolled: 1-line block ×4, first 2 shown]
	v_mov_b32_e32 v56, s23
	v_mov_b32_e32 v58, 1
	;; [unrolled: 1-line block ×7, first 2 shown]
	v_writelane_b32 v120, s33, 44
                                        ; implicit-def: $vgpr0
                                        ; kill: killed $vgpr0
                                        ; implicit-def: $vgpr110
                                        ; implicit-def: $sgpr70_sgpr71
	s_branch .LBB7_15
.LBB7_2:                                ;   in Loop: Header=BB7_15 Depth=1
	s_or_b64 exec, exec, s[68:69]
	s_andn2_b64 s[66:67], s[76:77], exec
	s_and_b64 s[4:5], s[4:5], exec
	s_or_b64 s[76:77], s[66:67], s[4:5]
	s_andn2_b64 s[4:5], s[92:93], exec
	s_and_b64 s[6:7], s[6:7], exec
	s_or_b64 s[92:93], s[4:5], s[6:7]
	;; [unrolled: 3-line block ×3, first 2 shown]
	v_readlane_b32 s4, v119, 31
	v_readlane_b32 s5, v119, 32
	s_andn2_b64 s[4:5], s[4:5], exec
	s_and_b64 s[6:7], s[10:11], exec
	s_or_b64 s[68:69], s[4:5], s[6:7]
	v_readlane_b32 s4, v119, 29
	v_readlane_b32 s5, v119, 30
	s_andn2_b64 s[4:5], s[4:5], exec
	s_and_b64 s[6:7], s[12:13], exec
	s_or_b64 s[8:9], s[4:5], s[6:7]
	;; [unrolled: 5-line block ×26, first 2 shown]
	s_orn2_b64 s[4:5], s[64:65], exec
	s_mov_b64 s[64:65], s[8:9]
.LBB7_3:                                ;   in Loop: Header=BB7_15 Depth=1
	v_readlane_b32 s6, v127, 39
	v_readlane_b32 s7, v127, 40
	s_or_b64 exec, exec, s[6:7]
	v_readlane_b32 s6, v126, 33
	v_readlane_b32 s7, v126, 34
	s_mov_b32 s8, 0x281200
	s_waitcnt vmcnt(0)
	buffer_store_dword v20, off, s[0:3], s8 ; 4-byte Folded Spill
	s_andn2_b64 s[6:7], s[6:7], exec
	s_and_b64 s[8:9], s[76:77], exec
	s_or_b64 s[6:7], s[6:7], s[8:9]
	v_writelane_b32 v126, s6, 33
	v_writelane_b32 v126, s7, 34
	v_readlane_b32 s6, v126, 31
	v_readlane_b32 s7, v126, 32
	s_andn2_b64 s[6:7], s[6:7], exec
	s_and_b64 s[8:9], s[92:93], exec
	s_or_b64 s[6:7], s[6:7], s[8:9]
	v_writelane_b32 v126, s6, 31
	v_writelane_b32 v126, s7, 32
	v_readlane_b32 s6, v126, 29
	v_readlane_b32 s7, v126, 30
	;; [unrolled: 7-line block ×28, first 2 shown]
	s_andn2_b64 s[6:7], s[6:7], exec
	s_and_b64 s[8:9], s[62:63], exec
	s_or_b64 s[6:7], s[6:7], s[8:9]
	v_writelane_b32 v125, s6, 41
	v_writelane_b32 v125, s7, 42
	s_orn2_b64 s[4:5], s[4:5], exec
.LBB7_4:                                ;   in Loop: Header=BB7_15 Depth=1
	v_readlane_b32 s6, v127, 35
	v_readlane_b32 s7, v127, 36
	s_or_b64 exec, exec, s[6:7]
	v_readlane_b32 s6, v124, 45
	v_readlane_b32 s8, v126, 33
	v_readlane_b32 s7, v124, 46
	v_readlane_b32 s9, v126, 34
	s_andn2_b64 s[6:7], s[6:7], exec
	s_and_b64 s[8:9], s[8:9], exec
	s_or_b64 s[6:7], s[6:7], s[8:9]
	v_writelane_b32 v124, s6, 45
	v_writelane_b32 v124, s7, 46
	v_readlane_b32 s6, v124, 47
	v_readlane_b32 s8, v126, 31
	v_readlane_b32 s7, v124, 48
	v_readlane_b32 s9, v126, 32
	s_andn2_b64 s[6:7], s[6:7], exec
	s_and_b64 s[8:9], s[8:9], exec
	s_or_b64 s[6:7], s[6:7], s[8:9]
	v_writelane_b32 v124, s6, 47
	v_writelane_b32 v124, s7, 48
	;; [unrolled: 9-line block ×29, first 2 shown]
	s_orn2_b64 s[4:5], s[4:5], exec
.LBB7_5:                                ;   in Loop: Header=BB7_15 Depth=1
	v_readlane_b32 s6, v125, 39
	v_readlane_b32 s7, v125, 40
	s_or_b64 exec, exec, s[6:7]
	v_readlane_b32 s8, v124, 45
	v_readlane_b32 s9, v124, 46
	s_andn2_b64 s[6:7], s[96:97], exec
	s_and_b64 s[8:9], s[8:9], exec
	s_or_b64 s[96:97], s[6:7], s[8:9]
	v_readlane_b32 s6, v124, 47
	v_readlane_b32 s7, v124, 48
	s_andn2_b64 s[62:63], s[94:95], exec
	s_and_b64 s[6:7], s[6:7], exec
	s_or_b64 s[60:61], s[62:63], s[6:7]
	v_readlane_b32 s6, v124, 49
	v_readlane_b32 s7, v124, 50
	s_and_b64 s[6:7], s[6:7], exec
	s_or_b64 s[58:59], s[62:63], s[6:7]
	v_readlane_b32 s6, v124, 51
	v_readlane_b32 s7, v124, 52
	s_and_b64 s[6:7], s[6:7], exec
	s_or_b64 s[56:57], s[62:63], s[6:7]
	v_readlane_b32 s6, v124, 53
	v_readlane_b32 s7, v124, 54
	s_and_b64 s[6:7], s[6:7], exec
	s_or_b64 s[54:55], s[62:63], s[6:7]
	v_readlane_b32 s6, v124, 55
	v_readlane_b32 s7, v124, 56
	s_and_b64 s[6:7], s[6:7], exec
	s_or_b64 s[52:53], s[62:63], s[6:7]
	v_readlane_b32 s6, v124, 57
	v_readlane_b32 s7, v124, 58
	s_and_b64 s[6:7], s[6:7], exec
	s_or_b64 s[50:51], s[62:63], s[6:7]
	v_readlane_b32 s6, v124, 59
	v_readlane_b32 s7, v124, 60
	s_and_b64 s[6:7], s[6:7], exec
	s_or_b64 s[48:49], s[62:63], s[6:7]
	v_readlane_b32 s6, v124, 61
	v_readlane_b32 s7, v124, 62
	s_and_b64 s[6:7], s[6:7], exec
	s_or_b64 s[46:47], s[62:63], s[6:7]
	v_readlane_b32 s6, v124, 63
	v_readlane_b32 s7, v125, 0
	s_and_b64 s[6:7], s[6:7], exec
	s_or_b64 s[44:45], s[62:63], s[6:7]
	v_readlane_b32 s6, v125, 1
	v_readlane_b32 s7, v125, 2
	s_and_b64 s[6:7], s[6:7], exec
	s_or_b64 s[42:43], s[62:63], s[6:7]
	v_readlane_b32 s6, v125, 3
	v_readlane_b32 s7, v125, 4
	s_and_b64 s[6:7], s[6:7], exec
	s_or_b64 s[40:41], s[62:63], s[6:7]
	v_readlane_b32 s6, v125, 5
	v_readlane_b32 s7, v125, 6
	s_and_b64 s[6:7], s[6:7], exec
	s_or_b64 s[38:39], s[62:63], s[6:7]
	v_readlane_b32 s6, v125, 7
	v_readlane_b32 s7, v125, 8
	s_and_b64 s[6:7], s[6:7], exec
	s_or_b64 s[36:37], s[62:63], s[6:7]
	v_readlane_b32 s6, v125, 9
	v_readlane_b32 s7, v125, 10
	s_and_b64 s[6:7], s[6:7], exec
	s_or_b64 s[34:35], s[62:63], s[6:7]
	v_readlane_b32 s6, v125, 11
	v_readlane_b32 s7, v125, 12
	s_and_b64 s[6:7], s[6:7], exec
	s_or_b64 s[30:31], s[62:63], s[6:7]
	v_readlane_b32 s6, v125, 13
	v_readlane_b32 s7, v125, 14
	s_and_b64 s[6:7], s[6:7], exec
	s_or_b64 s[28:29], s[62:63], s[6:7]
	v_readlane_b32 s6, v125, 15
	v_readlane_b32 s7, v125, 16
	s_and_b64 s[6:7], s[6:7], exec
	s_or_b64 s[26:27], s[62:63], s[6:7]
	v_readlane_b32 s6, v125, 17
	v_readlane_b32 s7, v125, 18
	s_and_b64 s[6:7], s[6:7], exec
	s_or_b64 s[24:25], s[62:63], s[6:7]
	v_readlane_b32 s6, v125, 19
	v_readlane_b32 s7, v125, 20
	s_and_b64 s[6:7], s[6:7], exec
	s_or_b64 s[22:23], s[62:63], s[6:7]
	v_readlane_b32 s6, v125, 21
	v_readlane_b32 s7, v125, 22
	s_and_b64 s[6:7], s[6:7], exec
	s_or_b64 s[20:21], s[62:63], s[6:7]
	v_readlane_b32 s6, v125, 23
	v_readlane_b32 s7, v125, 24
	s_and_b64 s[6:7], s[6:7], exec
	s_or_b64 s[18:19], s[62:63], s[6:7]
	v_readlane_b32 s6, v125, 25
	v_readlane_b32 s7, v125, 26
	s_and_b64 s[6:7], s[6:7], exec
	s_or_b64 s[16:17], s[62:63], s[6:7]
	v_readlane_b32 s6, v125, 27
	v_readlane_b32 s7, v125, 28
	s_and_b64 s[6:7], s[6:7], exec
	s_or_b64 s[14:15], s[62:63], s[6:7]
	v_readlane_b32 s6, v125, 29
	v_readlane_b32 s7, v125, 30
	s_and_b64 s[6:7], s[6:7], exec
	s_or_b64 s[12:13], s[62:63], s[6:7]
	v_readlane_b32 s6, v125, 31
	v_readlane_b32 s7, v125, 32
	s_and_b64 s[6:7], s[6:7], exec
	s_or_b64 s[10:11], s[62:63], s[6:7]
	v_readlane_b32 s6, v125, 33
	v_readlane_b32 s7, v125, 34
	s_and_b64 s[6:7], s[6:7], exec
	s_or_b64 s[8:9], s[62:63], s[6:7]
	v_readlane_b32 s6, v125, 35
	v_readlane_b32 s64, v125, 37
	v_readlane_b32 s7, v125, 36
	v_readlane_b32 s65, v125, 38
	s_and_b64 s[6:7], s[6:7], exec
	s_and_b64 s[64:65], s[64:65], exec
	s_or_b64 s[6:7], s[62:63], s[6:7]
	s_or_b64 s[94:95], s[62:63], s[64:65]
	s_orn2_b64 s[4:5], s[4:5], exec
.LBB7_6:                                ;   in Loop: Header=BB7_15 Depth=1
	v_readlane_b32 s62, v124, 43
	v_readlane_b32 s63, v124, 44
	s_or_b64 exec, exec, s[62:63]
	s_and_b64 s[64:65], s[96:97], exec
	s_and_b64 s[62:63], s[60:61], exec
	;; [unrolled: 1-line block ×16, first 2 shown]
	s_orn2_b64 s[30:31], s[28:29], exec
	s_and_b64 s[28:29], s[26:27], exec
	s_and_b64 s[26:27], s[24:25], exec
	;; [unrolled: 1-line block ×12, first 2 shown]
	s_orn2_b64 s[4:5], s[4:5], exec
.LBB7_7:                                ;   in Loop: Header=BB7_15 Depth=1
	v_readlane_b32 s66, v124, 41
	v_readlane_b32 s67, v124, 42
	s_or_b64 exec, exec, s[66:67]
	v_readlane_b32 s66, v123, 25
	v_readlane_b32 s67, v123, 26
	s_andn2_b64 s[66:67], s[66:67], exec
	s_and_b64 s[64:65], s[64:65], exec
	s_or_b64 s[64:65], s[66:67], s[64:65]
	v_writelane_b32 v123, s64, 25
	v_writelane_b32 v123, s65, 26
	v_readlane_b32 s64, v123, 23
	v_readlane_b32 s65, v123, 24
	s_andn2_b64 s[64:65], s[64:65], exec
	s_and_b64 s[62:63], s[62:63], exec
	s_or_b64 s[62:63], s[64:65], s[62:63]
	v_writelane_b32 v123, s62, 23
	v_writelane_b32 v123, s63, 24
	;; [unrolled: 7-line block ×29, first 2 shown]
	s_orn2_b64 s[4:5], s[4:5], exec
.LBB7_8:                                ;   in Loop: Header=BB7_15 Depth=1
	v_readlane_b32 s6, v123, 61
	v_readlane_b32 s7, v123, 62
	s_or_b64 exec, exec, s[6:7]
	v_readlane_b32 s6, v123, 25
	v_readlane_b32 s7, v123, 26
	s_and_b64 s[56:57], s[6:7], exec
	v_readlane_b32 s6, v123, 23
	v_readlane_b32 s7, v123, 24
	s_and_b64 s[54:55], s[6:7], exec
	;; [unrolled: 3-line block ×19, first 2 shown]
	v_readlane_b32 s6, v122, 53
	v_readlane_b32 s8, v123, 15
	v_readlane_b32 s7, v122, 54
	v_readlane_b32 s9, v123, 16
	s_andn2_b64 s[6:7], s[6:7], exec
	s_and_b64 s[8:9], s[8:9], exec
	s_or_b64 s[6:7], s[6:7], s[8:9]
	v_writelane_b32 v122, s6, 53
	v_writelane_b32 v122, s7, 54
	v_readlane_b32 s6, v122, 51
	v_readlane_b32 s8, v123, 13
	v_readlane_b32 s7, v122, 52
	v_readlane_b32 s9, v123, 14
	s_andn2_b64 s[6:7], s[6:7], exec
	s_and_b64 s[8:9], s[8:9], exec
	s_or_b64 s[6:7], s[6:7], s[8:9]
	v_writelane_b32 v122, s6, 51
	v_writelane_b32 v122, s7, 52
	;; [unrolled: 9-line block ×4, first 2 shown]
	v_readlane_b32 s6, v123, 9
	v_readlane_b32 s7, v123, 10
	s_and_b64 s[16:17], s[6:7], exec
	v_readlane_b32 s6, v123, 7
	v_readlane_b32 s7, v123, 8
	s_and_b64 s[14:15], s[6:7], exec
	;; [unrolled: 3-line block ×6, first 2 shown]
	s_orn2_b64 s[4:5], s[4:5], exec
.LBB7_9:                                ;   in Loop: Header=BB7_15 Depth=1
	v_readlane_b32 s58, v122, 61
	v_readlane_b32 s59, v122, 62
	s_or_b64 exec, exec, s[58:59]
	s_and_b64 s[60:61], s[52:53], exec
	s_and_b64 s[52:53], s[44:45], exec
	s_and_b64 s[44:45], s[36:37], exec
	s_and_b64 s[36:37], s[26:27], exec
	s_and_b64 s[26:27], s[18:19], exec
	v_readlane_b32 s18, v122, 53
	v_readlane_b32 s19, v122, 54
	s_and_b64 s[58:59], s[50:51], exec
	s_and_b64 s[50:51], s[42:43], exec
	;; [unrolled: 1-line block ×5, first 2 shown]
	v_readlane_b32 s18, v122, 51
	v_readlane_b32 s19, v122, 52
	s_and_b64 s[64:65], s[56:57], exec
	s_and_b64 s[56:57], s[48:49], exec
	;; [unrolled: 1-line block ×6, first 2 shown]
	v_readlane_b32 s18, v122, 49
	v_readlane_b32 s19, v122, 50
	s_and_b64 s[62:63], s[54:55], exec
	s_and_b64 s[54:55], s[46:47], exec
	;; [unrolled: 1-line block ×6, first 2 shown]
	v_readlane_b32 s18, v122, 47
	v_readlane_b32 s19, v122, 48
	s_orn2_b64 s[18:19], s[18:19], exec
	s_and_b64 s[16:17], s[16:17], exec
	s_and_b64 s[14:15], s[14:15], exec
	;; [unrolled: 1-line block ×6, first 2 shown]
	s_orn2_b64 s[4:5], s[4:5], exec
.LBB7_10:                               ;   in Loop: Header=BB7_15 Depth=1
	v_readlane_b32 s66, v122, 45
	v_readlane_b32 s67, v122, 46
	s_or_b64 exec, exec, s[66:67]
	v_readlane_b32 s66, v121, 55
	v_readlane_b32 s67, v121, 56
	s_andn2_b64 s[66:67], s[66:67], exec
	s_and_b64 s[64:65], s[64:65], exec
	s_or_b64 s[64:65], s[66:67], s[64:65]
	v_writelane_b32 v121, s64, 55
	v_writelane_b32 v121, s65, 56
	v_readlane_b32 s64, v121, 57
	v_readlane_b32 s65, v121, 58
	s_andn2_b64 s[64:65], s[64:65], exec
	s_and_b64 s[62:63], s[62:63], exec
	s_or_b64 s[62:63], s[64:65], s[62:63]
	v_writelane_b32 v121, s62, 57
	v_writelane_b32 v121, s63, 58
	v_readlane_b32 s62, v121, 59
	v_readlane_b32 s63, v121, 60
	s_andn2_b64 s[62:63], s[62:63], exec
	s_and_b64 s[60:61], s[60:61], exec
	s_or_b64 s[60:61], s[62:63], s[60:61]
	v_writelane_b32 v121, s60, 59
	v_writelane_b32 v121, s61, 60
	v_readlane_b32 s60, v121, 61
	v_readlane_b32 s61, v121, 62
	s_andn2_b64 s[60:61], s[60:61], exec
	s_and_b64 s[58:59], s[58:59], exec
	s_or_b64 s[58:59], s[60:61], s[58:59]
	v_writelane_b32 v121, s58, 61
	v_writelane_b32 v121, s59, 62
	v_readlane_b32 s58, v121, 63
	v_readlane_b32 s59, v122, 0
	s_andn2_b64 s[58:59], s[58:59], exec
	s_and_b64 s[56:57], s[56:57], exec
	s_or_b64 s[56:57], s[58:59], s[56:57]
	v_writelane_b32 v121, s56, 63
	v_writelane_b32 v122, s57, 0
	v_readlane_b32 s56, v122, 1
	v_readlane_b32 s57, v122, 2
	s_andn2_b64 s[56:57], s[56:57], exec
	s_and_b64 s[54:55], s[54:55], exec
	s_or_b64 s[54:55], s[56:57], s[54:55]
	v_writelane_b32 v122, s54, 1
	v_writelane_b32 v122, s55, 2
	v_readlane_b32 s54, v122, 3
	v_readlane_b32 s55, v122, 4
	s_andn2_b64 s[54:55], s[54:55], exec
	s_and_b64 s[52:53], s[52:53], exec
	s_or_b64 s[52:53], s[54:55], s[52:53]
	v_writelane_b32 v122, s52, 3
	v_writelane_b32 v122, s53, 4
	v_readlane_b32 s52, v122, 5
	v_readlane_b32 s53, v122, 6
	s_andn2_b64 s[52:53], s[52:53], exec
	s_and_b64 s[50:51], s[50:51], exec
	s_or_b64 s[50:51], s[52:53], s[50:51]
	v_writelane_b32 v122, s50, 5
	v_writelane_b32 v122, s51, 6
	v_readlane_b32 s50, v122, 7
	v_readlane_b32 s51, v122, 8
	s_andn2_b64 s[50:51], s[50:51], exec
	s_and_b64 s[48:49], s[48:49], exec
	s_or_b64 s[48:49], s[50:51], s[48:49]
	v_writelane_b32 v122, s48, 7
	v_writelane_b32 v122, s49, 8
	v_readlane_b32 s48, v122, 9
	v_readlane_b32 s49, v122, 10
	s_andn2_b64 s[48:49], s[48:49], exec
	s_and_b64 s[46:47], s[46:47], exec
	s_or_b64 s[46:47], s[48:49], s[46:47]
	v_writelane_b32 v122, s46, 9
	v_writelane_b32 v122, s47, 10
	v_readlane_b32 s46, v122, 11
	v_readlane_b32 s47, v122, 12
	s_andn2_b64 s[46:47], s[46:47], exec
	s_and_b64 s[44:45], s[44:45], exec
	s_or_b64 s[44:45], s[46:47], s[44:45]
	v_writelane_b32 v122, s44, 11
	v_writelane_b32 v122, s45, 12
	v_readlane_b32 s44, v122, 13
	v_readlane_b32 s45, v122, 14
	s_andn2_b64 s[44:45], s[44:45], exec
	s_and_b64 s[42:43], s[42:43], exec
	s_or_b64 s[42:43], s[44:45], s[42:43]
	v_writelane_b32 v122, s42, 13
	v_writelane_b32 v122, s43, 14
	v_readlane_b32 s42, v122, 15
	v_readlane_b32 s43, v122, 16
	s_andn2_b64 s[42:43], s[42:43], exec
	s_and_b64 s[40:41], s[40:41], exec
	s_or_b64 s[40:41], s[42:43], s[40:41]
	v_writelane_b32 v122, s40, 15
	v_writelane_b32 v122, s41, 16
	v_readlane_b32 s40, v122, 17
	v_readlane_b32 s41, v122, 18
	s_andn2_b64 s[40:41], s[40:41], exec
	s_and_b64 s[38:39], s[38:39], exec
	s_or_b64 s[38:39], s[40:41], s[38:39]
	v_writelane_b32 v122, s38, 17
	v_writelane_b32 v122, s39, 18
	v_readlane_b32 s38, v122, 19
	v_readlane_b32 s39, v122, 20
	s_andn2_b64 s[38:39], s[38:39], exec
	s_and_b64 s[36:37], s[36:37], exec
	s_or_b64 s[36:37], s[38:39], s[36:37]
	v_writelane_b32 v122, s36, 19
	v_writelane_b32 v122, s37, 20
	v_readlane_b32 s36, v122, 21
	v_readlane_b32 s37, v122, 22
	s_andn2_b64 s[36:37], s[36:37], exec
	s_and_b64 s[34:35], s[34:35], exec
	s_or_b64 s[34:35], s[36:37], s[34:35]
	v_writelane_b32 v122, s34, 21
	v_writelane_b32 v122, s35, 22
	v_readlane_b32 s34, v122, 23
	v_readlane_b32 s35, v122, 24
	s_andn2_b64 s[34:35], s[34:35], exec
	s_and_b64 s[30:31], s[30:31], exec
	s_or_b64 s[30:31], s[34:35], s[30:31]
	v_writelane_b32 v122, s30, 23
	v_writelane_b32 v122, s31, 24
	v_readlane_b32 s30, v122, 25
	v_readlane_b32 s31, v122, 26
	s_andn2_b64 s[30:31], s[30:31], exec
	s_and_b64 s[28:29], s[28:29], exec
	s_or_b64 s[28:29], s[30:31], s[28:29]
	v_writelane_b32 v122, s28, 25
	v_writelane_b32 v122, s29, 26
	v_readlane_b32 s28, v122, 27
	v_readlane_b32 s29, v122, 28
	s_andn2_b64 s[28:29], s[28:29], exec
	s_and_b64 s[26:27], s[26:27], exec
	s_or_b64 s[26:27], s[28:29], s[26:27]
	v_writelane_b32 v122, s26, 27
	v_writelane_b32 v122, s27, 28
	v_readlane_b32 s26, v122, 29
	v_readlane_b32 s27, v122, 30
	s_andn2_b64 s[26:27], s[26:27], exec
	s_and_b64 s[24:25], s[24:25], exec
	s_or_b64 s[24:25], s[26:27], s[24:25]
	v_writelane_b32 v122, s24, 29
	v_writelane_b32 v122, s25, 30
	v_readlane_b32 s24, v121, 49
	v_readlane_b32 s25, v121, 50
	s_andn2_b64 s[24:25], s[24:25], exec
	s_and_b64 s[22:23], s[22:23], exec
	s_or_b64 s[22:23], s[24:25], s[22:23]
	v_writelane_b32 v121, s22, 49
	v_writelane_b32 v121, s23, 50
	v_readlane_b32 s22, v122, 31
	v_readlane_b32 s23, v122, 32
	s_andn2_b64 s[22:23], s[22:23], exec
	s_and_b64 s[20:21], s[20:21], exec
	s_or_b64 s[20:21], s[22:23], s[20:21]
	v_writelane_b32 v122, s20, 31
	v_writelane_b32 v122, s21, 32
	v_readlane_b32 s20, v122, 33
	v_readlane_b32 s21, v122, 34
	s_andn2_b64 s[20:21], s[20:21], exec
	s_and_b64 s[18:19], s[18:19], exec
	s_or_b64 s[18:19], s[20:21], s[18:19]
	v_writelane_b32 v122, s18, 33
	v_writelane_b32 v122, s19, 34
	v_readlane_b32 s18, v122, 35
	v_readlane_b32 s19, v122, 36
	s_andn2_b64 s[18:19], s[18:19], exec
	s_and_b64 s[16:17], s[16:17], exec
	s_or_b64 s[16:17], s[18:19], s[16:17]
	v_writelane_b32 v122, s16, 35
	v_writelane_b32 v122, s17, 36
	v_readlane_b32 s16, v122, 37
	v_readlane_b32 s17, v122, 38
	s_andn2_b64 s[16:17], s[16:17], exec
	s_and_b64 s[14:15], s[14:15], exec
	s_or_b64 s[14:15], s[16:17], s[14:15]
	v_writelane_b32 v122, s14, 37
	v_writelane_b32 v122, s15, 38
	v_readlane_b32 s14, v122, 39
	v_readlane_b32 s15, v122, 40
	s_andn2_b64 s[14:15], s[14:15], exec
	s_and_b64 s[12:13], s[12:13], exec
	s_or_b64 s[12:13], s[14:15], s[12:13]
	v_writelane_b32 v122, s12, 39
	v_writelane_b32 v122, s13, 40
	v_readlane_b32 s12, v121, 51
	v_readlane_b32 s13, v121, 52
	s_andn2_b64 s[12:13], s[12:13], exec
	s_and_b64 s[10:11], s[10:11], exec
	s_or_b64 s[10:11], s[12:13], s[10:11]
	v_writelane_b32 v121, s10, 51
	v_writelane_b32 v121, s11, 52
	v_readlane_b32 s10, v121, 53
	v_readlane_b32 s11, v121, 54
	s_andn2_b64 s[10:11], s[10:11], exec
	s_and_b64 s[8:9], s[8:9], exec
	s_or_b64 s[8:9], s[10:11], s[8:9]
	v_writelane_b32 v121, s8, 53
	v_writelane_b32 v121, s9, 54
	v_readlane_b32 s8, v122, 43
	v_readlane_b32 s9, v122, 44
	s_andn2_b64 s[8:9], s[8:9], exec
	s_and_b64 s[6:7], s[6:7], exec
	v_readlane_b32 s22, v121, 45
	s_or_b64 s[66:67], s[8:9], s[6:7]
	s_orn2_b64 s[4:5], s[4:5], exec
	v_readlane_b32 s23, v121, 46
.LBB7_11:                               ;   in Loop: Header=BB7_15 Depth=1
	v_readlane_b32 s6, v122, 41
	v_readlane_b32 s7, v122, 42
	s_or_b64 exec, exec, s[6:7]
	v_readlane_b32 s6, v121, 55
	v_readlane_b32 s7, v121, 56
	s_andn2_b64 s[64:65], s[22:23], exec
	s_and_b64 s[6:7], s[6:7], exec
	s_or_b64 s[62:63], s[64:65], s[6:7]
	v_readlane_b32 s6, v121, 57
	v_readlane_b32 s7, v121, 58
	s_and_b64 s[6:7], s[6:7], exec
	s_or_b64 s[60:61], s[64:65], s[6:7]
	v_readlane_b32 s6, v121, 59
	v_readlane_b32 s7, v121, 60
	;; [unrolled: 4-line block ×27, first 2 shown]
	s_and_b64 s[6:7], s[6:7], exec
	s_and_b64 s[66:67], s[66:67], exec
	s_or_b64 s[6:7], s[64:65], s[6:7]
	s_or_b64 s[68:69], s[64:65], s[66:67]
	s_orn2_b64 s[4:5], s[4:5], exec
.LBB7_12:                               ;   in Loop: Header=BB7_15 Depth=1
	v_readlane_b32 s64, v121, 47
	v_readlane_b32 s65, v121, 48
	s_or_b64 exec, exec, s[64:65]
	s_and_b64 s[64:65], s[62:63], exec
	s_and_b64 s[62:63], s[60:61], exec
	;; [unrolled: 1-line block ×27, first 2 shown]
	s_orn2_b64 s[8:9], s[6:7], exec
	s_and_b64 s[6:7], s[68:69], exec
	s_orn2_b64 s[4:5], s[4:5], exec
.LBB7_13:                               ;   in Loop: Header=BB7_15 Depth=1
	v_readlane_b32 s66, v120, 49
	v_readlane_b32 s67, v120, 50
	s_or_b64 exec, exec, s[66:67]
	v_readlane_b32 s66, v120, 47
	v_readlane_b32 s67, v120, 48
	s_andn2_b64 s[66:67], s[66:67], exec
	s_and_b64 s[64:65], s[64:65], exec
	s_or_b64 s[68:69], s[66:67], s[64:65]
	s_and_b64 s[62:63], s[62:63], exec
	s_and_b64 s[60:61], s[60:61], exec
	;; [unrolled: 1-line block ×27, first 2 shown]
	s_orn2_b64 s[6:7], s[6:7], exec
	s_orn2_b64 s[4:5], s[4:5], exec
.LBB7_14:                               ;   in Loop: Header=BB7_15 Depth=1
	v_readlane_b32 s64, v120, 45
	v_readlane_b32 s65, v120, 46
	s_or_b64 exec, exec, s[64:65]
	s_xor_b64 s[62:63], s[62:63], -1
	s_xor_b64 s[60:61], s[60:61], -1
	;; [unrolled: 1-line block ×28, first 2 shown]
	v_readlane_b32 s66, v120, 24
	s_and_b64 s[4:5], exec, s[4:5]
	v_readlane_b32 s67, v120, 25
	s_or_b64 s[66:67], s[4:5], s[66:67]
	v_readlane_b32 s4, v120, 51
	v_readlane_b32 s5, v120, 52
	s_andn2_b64 s[4:5], s[4:5], exec
	s_and_b64 s[64:65], s[68:69], exec
	s_or_b64 s[4:5], s[4:5], s[64:65]
	v_writelane_b32 v120, s4, 51
	v_writelane_b32 v120, s5, 52
	v_readlane_b32 s4, v120, 53
	v_readlane_b32 s5, v120, 54
	s_andn2_b64 s[4:5], s[4:5], exec
	s_and_b64 s[62:63], s[62:63], exec
	s_or_b64 s[4:5], s[4:5], s[62:63]
	v_writelane_b32 v120, s4, 53
	v_writelane_b32 v120, s5, 54
	;; [unrolled: 7-line block ×29, first 2 shown]
	s_mov_b64 s[70:71], s[68:69]
	v_writelane_b32 v121, s5, 44
	v_writelane_b32 v120, s67, 25
	s_andn2_b64 exec, exec, s[66:67]
	s_cbranch_execz .LBB7_280
.LBB7_15:                               ; =>This Loop Header: Depth=1
                                        ;     Child Loop BB7_21 Depth 2
                                        ;     Child Loop BB7_39 Depth 2
	;; [unrolled: 1-line block ×7, first 2 shown]
                                        ;       Child Loop BB7_108 Depth 3
                                        ;     Child Loop BB7_130 Depth 2
                                        ;     Child Loop BB7_134 Depth 2
	;; [unrolled: 1-line block ×9, first 2 shown]
                                        ;       Child Loop BB7_226 Depth 3
                                        ;     Child Loop BB7_261 Depth 2
	v_ashrrev_i32_e32 v75, 31, v74
	v_lshlrev_b64 v[90:91], 2, v[74:75]
	v_readlane_b32 s4, v120, 26
	v_add_co_u32_e32 v0, vcc, s4, v90
	v_addc_co_u32_e32 v1, vcc, v46, v91, vcc
	global_load_dword v92, v[0:1], off
	v_readlane_b32 s8, v120, 30
	v_readlane_b32 s10, v120, 32
	;; [unrolled: 1-line block ×7, first 2 shown]
	s_waitcnt vmcnt(0)
	v_ashrrev_i32_e32 v93, 31, v92
	v_lshlrev_b64 v[0:1], 2, v[92:93]
	v_add_co_u32_e32 v2, vcc, s8, v0
	v_addc_co_u32_e32 v3, vcc, v47, v1, vcc
	v_add_co_u32_e32 v0, vcc, s10, v0
	v_addc_co_u32_e32 v1, vcc, v56, v1, vcc
	global_load_dword v40, v[2:3], off
	global_load_dword v75, v[0:1], off
	v_cmp_ne_u32_e32 vcc, 0, v74
	v_mov_b32_e32 v0, 0
	s_and_saveexec_b64 s[4:5], vcc
	s_cbranch_execz .LBB7_17
; %bb.16:                               ;   in Loop: Header=BB7_15 Depth=1
	v_readlane_b32 s6, v120, 23
	v_mov_b32_e32 v1, s6
	v_readlane_b32 s6, v120, 22
	v_add_co_u32_e32 v0, vcc, s6, v90
	v_addc_co_u32_e32 v1, vcc, v1, v91, vcc
	global_load_dword v0, v[0:1], off
.LBB7_17:                               ;   in Loop: Header=BB7_15 Depth=1
	s_or_b64 exec, exec, s[4:5]
	v_readlane_b32 s4, v120, 34
	v_add_co_u32_e32 v2, vcc, s4, v90
	v_addc_co_u32_e32 v3, vcc, v57, v91, vcc
	global_load_dword v1, v[2:3], off
	s_waitcnt vmcnt(2)
	v_add_u32_e32 v2, -5, v40
	v_readlane_b32 s5, v120, 35
	v_lshlrev_b32_e64 v2, v2, 1
	v_cmp_lt_i32_e32 vcc, 5, v40
	s_mov_b64 s[4:5], -1
	s_mov_b64 s[8:9], 0
	s_andn2_b64 s[68:69], s[70:71], exec
	s_mov_b64 s[6:7], -1
	s_mov_b64 s[10:11], 0
	s_mov_b64 s[12:13], 0
	;; [unrolled: 1-line block ×25, first 2 shown]
	v_cndmask_b32_e32 v109, 1, v2, vcc
	s_mov_b64 s[62:63], 0
	s_waitcnt vmcnt(0)
	v_sub_u32_e32 v1, v1, v0
	v_cmp_eq_u32_e32 vcc, v1, v109
	s_mov_b64 s[64:65], exec
	v_writelane_b32 v120, s64, 45
	v_writelane_b32 v120, s65, 46
	s_and_b64 s[64:65], s[64:65], vcc
                                        ; implicit-def: $vgpr121 : SGPR spill to VGPR lane
	s_mov_b64 exec, s[64:65]
	s_cbranch_execz .LBB7_14
; %bb.18:                               ;   in Loop: Header=BB7_15 Depth=1
	buffer_load_dword v1, v41, s[0:3], 0 offen offset:28
	v_writelane_b32 v120, s68, 47
	v_writelane_b32 v120, s69, 48
	s_mov_b64 s[6:7], 0
	s_mov_b64 s[8:9], -1
	s_mov_b64 s[64:65], 0
	s_waitcnt vmcnt(0)
	v_cmp_lt_i32_e32 vcc, -1, v1
	s_mov_b64 s[66:67], exec
	v_writelane_b32 v120, s66, 49
	v_writelane_b32 v120, s67, 50
	s_and_b64 s[66:67], s[66:67], vcc
	s_mov_b64 exec, s[66:67]
	s_cbranch_execz .LBB7_13
; %bb.19:                               ;   in Loop: Header=BB7_15 Depth=1
	v_ashrrev_i32_e32 v1, 31, v0
	v_readlane_b32 s4, v120, 18
	v_lshlrev_b64 v[0:1], 2, v[0:1]
	v_readlane_b32 s5, v120, 19
	v_readlane_b32 s6, v120, 20
	;; [unrolled: 1-line block ×3, first 2 shown]
	v_mov_b32_e32 v2, s7
	v_add_co_u32_e32 v72, vcc, s6, v0
	v_readlane_b32 s4, v120, 0
	s_movk_i32 s6, 0x1030
	v_addc_co_u32_e32 v73, vcc, v2, v1, vcc
	v_readlane_b32 s5, v120, 1
	s_add_u32 s8, s4, 0x80
	v_mov_b32_e32 v7, s6
	s_mov_b64 s[6:7], src_private_base
	s_addc_u32 s9, s5, 0
	v_mov_b32_e32 v0, v72
	v_mov_b32_e32 v1, v73
	;; [unrolled: 1-line block ×8, first 2 shown]
	buffer_store_dword v77, v41, s[0:3], 0 offen offset:28
	s_getpc_b64 s[4:5]
	s_add_u32 s4, s4, _ZN3sop13minatoIsopRecEPKjS1_iPNS_3SopEP7VecsMemIjLi8192EE@rel32@lo+4
	s_addc_u32 s5, s5, _ZN3sop13minatoIsopRecEPKjS1_iPNS_3SopEP7VecsMemIjLi8192EE@rel32@hi+12
	s_swappc_b64 s[30:31], s[4:5]
	s_mov_b64 s[4:5], 0
	v_mov_b32_e32 v76, v109
                                        ; implicit-def: $sgpr68_sgpr69
                                        ; implicit-def: $sgpr64_sgpr65
                                        ; implicit-def: $sgpr8_sgpr9
                                        ; implicit-def: $sgpr6_sgpr7
	s_branch .LBB7_21
.LBB7_20:                               ;   in Loop: Header=BB7_21 Depth=2
	s_or_b64 exec, exec, s[10:11]
	s_and_b64 s[10:11], exec, s[8:9]
	s_or_b64 s[4:5], s[10:11], s[4:5]
	s_andn2_b64 s[10:11], s[64:65], exec
	s_and_b64 s[14:15], s[6:7], exec
	s_or_b64 s[64:65], s[10:11], s[14:15]
	s_andn2_b64 s[10:11], s[68:69], exec
	s_and_b64 s[12:13], s[12:13], exec
	s_or_b64 s[68:69], s[10:11], s[12:13]
	s_andn2_b64 exec, exec, s[4:5]
	s_cbranch_execz .LBB7_23
.LBB7_21:                               ;   Parent Loop BB7_15 Depth=1
                                        ; =>  This Inner Loop Header: Depth=2
	v_cmp_lt_i32_e32 vcc, 0, v76
	s_or_b64 s[6:7], s[6:7], exec
	s_or_b64 s[8:9], s[8:9], exec
                                        ; implicit-def: $sgpr12_sgpr13
	s_and_saveexec_b64 s[10:11], vcc
	s_cbranch_execz .LBB7_20
; %bb.22:                               ;   in Loop: Header=BB7_21 Depth=2
	v_add_u32_e32 v76, -1, v76
	v_lshlrev_b64 v[2:3], 2, v[76:77]
	v_add_co_u32_e32 v4, vcc, v72, v2
	v_addc_co_u32_e32 v5, vcc, v73, v3, vcc
	v_add_co_u32_e32 v2, vcc, v0, v2
	v_addc_co_u32_e32 v3, vcc, v1, v3, vcc
	global_load_dword v4, v[4:5], off
	s_andn2_b64 s[8:9], s[8:9], exec
	flat_load_dword v2, v[2:3]
	s_mov_b64 s[12:13], 0
	s_andn2_b64 s[6:7], s[6:7], exec
	s_waitcnt vmcnt(0) lgkmcnt(0)
	v_cmp_ne_u32_e32 vcc, v4, v2
	s_and_b64 s[14:15], vcc, exec
	s_or_b64 s[8:9], s[8:9], s[14:15]
	s_branch .LBB7_20
.LBB7_23:                               ;   in Loop: Header=BB7_15 Depth=1
	s_or_b64 exec, exec, s[4:5]
	s_mov_b64 s[4:5], -1
	s_mov_b64 s[6:7], s[68:69]
	s_mov_b64 s[8:9], s[68:69]
	;; [unrolled: 1-line block ×28, first 2 shown]
	s_and_saveexec_b64 s[66:67], s[64:65]
	s_xor_b64 s[66:67], exec, s[66:67]
	v_writelane_b32 v121, s66, 47
	v_writelane_b32 v121, s67, 48
	v_readlane_b32 s33, v120, 44
	s_cbranch_execz .LBB7_12
; %bb.24:                               ;   in Loop: Header=BB7_15 Depth=1
	ds_read_b32 v7, v78 offset:4
	v_writelane_b32 v121, s68, 45
	v_writelane_b32 v121, s69, 46
	s_mov_b64 s[10:11], 0
	s_mov_b64 s[4:5], 0
	s_waitcnt lgkmcnt(0)
	v_cmp_lt_i32_e32 vcc, 0, v7
	s_and_saveexec_b64 s[6:7], vcc
	s_xor_b64 s[6:7], exec, s[6:7]
	s_cbranch_execz .LBB7_28
; %bb.25:                               ;   in Loop: Header=BB7_15 Depth=1
	v_cmp_eq_u32_e32 vcc, 1, v7
	s_mov_b64 s[8:9], -1
	s_and_saveexec_b64 s[12:13], vcc
	s_cbranch_execz .LBB7_27
; %bb.26:                               ;   in Loop: Header=BB7_15 Depth=1
	ds_read_b64 v[0:1], v78 offset:8
	s_waitcnt lgkmcnt(0)
	flat_load_dword v0, v[0:1]
	s_waitcnt vmcnt(0) lgkmcnt(0)
	v_cmp_eq_u32_e32 vcc, 0, v0
	v_cmp_ne_u32_e64 s[4:5], 0, v0
	s_and_b64 s[10:11], vcc, exec
	s_orn2_b64 s[8:9], s[4:5], exec
.LBB7_27:                               ;   in Loop: Header=BB7_15 Depth=1
	s_or_b64 exec, exec, s[12:13]
	s_and_b64 s[4:5], s[10:11], exec
	s_and_b64 s[10:11], s[8:9], exec
.LBB7_28:                               ;   in Loop: Header=BB7_15 Depth=1
	s_andn2_saveexec_b64 s[6:7], s[6:7]
; %bb.29:                               ;   in Loop: Header=BB7_15 Depth=1
	v_cmp_ne_u32_e32 vcc, 0, v7
	s_andn2_b64 s[8:9], s[10:11], exec
	s_and_b64 s[10:11], vcc, exec
	s_or_b64 s[4:5], s[4:5], exec
	s_or_b64 s[10:11], s[8:9], s[10:11]
; %bb.30:                               ;   in Loop: Header=BB7_15 Depth=1
	s_or_b64 exec, exec, s[6:7]
	v_readlane_b32 s22, v121, 45
	v_readlane_b32 s23, v121, 46
	s_mov_b64 s[66:67], s[22:23]
	v_writelane_b32 v121, s22, 53
	v_writelane_b32 v121, s23, 54
	;; [unrolled: 1-line block ×4, first 2 shown]
	s_mov_b64 s[12:13], s[22:23]
	s_mov_b64 s[14:15], s[22:23]
	;; [unrolled: 1-line block ×5, first 2 shown]
	v_writelane_b32 v121, s22, 49
	s_mov_b64 s[8:9], 0
	v_writelane_b32 v121, s23, 50
	s_mov_b64 s[24:25], s[22:23]
	s_mov_b64 s[26:27], s[22:23]
	;; [unrolled: 1-line block ×20, first 2 shown]
	s_and_saveexec_b64 s[6:7], s[10:11]
	s_cbranch_execz .LBB7_45
; %bb.31:                               ;   in Loop: Header=BB7_15 Depth=1
	s_mov_b64 s[10:11], s[22:23]
	v_cmp_lt_i32_e32 vcc, 0, v7
	s_mov_b64 s[20:21], -1
	v_pk_mov_b32 v[0:1], 0, 0
	s_mov_b64 s[8:9], s[22:23]
	s_and_saveexec_b64 s[12:13], vcc
	s_cbranch_execz .LBB7_35
; %bb.32:                               ;   in Loop: Header=BB7_15 Depth=1
	buffer_load_dword v2, v41, s[0:3], 0 offen offset:28
	s_movk_i32 s8, 0x2001
	s_mov_b64 s[14:15], 0
	v_pk_mov_b32 v[0:1], 0, 0
	s_waitcnt vmcnt(0)
	v_add_u32_e32 v3, v2, v7
	v_cmp_gt_i32_e32 vcc, s8, v3
	s_and_saveexec_b64 s[8:9], vcc
	s_cbranch_execz .LBB7_34
; %bb.33:                               ;   in Loop: Header=BB7_15 Depth=1
	s_mov_b64 s[10:11], src_private_base
	s_mov_b64 s[14:15], exec
	v_lshl_add_u32 v0, v2, 2, v43
	v_mov_b32_e32 v1, s11
	buffer_store_dword v3, v41, s[0:3], 0 offen offset:28
.LBB7_34:                               ;   in Loop: Header=BB7_15 Depth=1
	s_or_b64 exec, exec, s[8:9]
	v_readlane_b32 s8, v121, 45
	v_readlane_b32 s9, v121, 46
	s_or_b64 s[10:11], s[8:9], exec
	s_andn2_b64 s[8:9], s[8:9], exec
	s_orn2_b64 s[20:21], s[14:15], exec
.LBB7_35:                               ;   in Loop: Header=BB7_15 Depth=1
	s_or_b64 exec, exec, s[12:13]
	s_mov_b64 s[12:13], 0
	s_mov_b64 s[16:17], s[8:9]
	;; [unrolled: 1-line block ×3, first 2 shown]
	s_and_saveexec_b64 s[14:15], s[20:21]
	s_cbranch_execz .LBB7_44
; %bb.36:                               ;   in Loop: Header=BB7_15 Depth=1
	v_cmp_ne_u64_e32 vcc, 0, v[0:1]
	s_mov_b64 s[16:17], -1
	s_mov_b64 s[20:21], 0
	s_mov_b64 s[18:19], 0
	s_and_saveexec_b64 s[12:13], vcc
	s_cbranch_execz .LBB7_43
; %bb.37:                               ;   in Loop: Header=BB7_15 Depth=1
	v_cmp_lt_i32_e32 vcc, 0, v7
	s_and_saveexec_b64 s[16:17], vcc
	s_cbranch_execz .LBB7_42
; %bb.38:                               ;   in Loop: Header=BB7_15 Depth=1
	ds_read_b64 v[2:3], v78 offset:8
	v_pk_mov_b32 v[4:5], v[0:1], v[0:1] op_sel:[0,1]
	v_mov_b32_e32 v6, v7
.LBB7_39:                               ;   Parent Loop BB7_15 Depth=1
                                        ; =>  This Inner Loop Header: Depth=2
	s_waitcnt lgkmcnt(0)
	flat_load_dword v8, v[2:3]
	v_add_co_u32_e32 v2, vcc, 4, v2
	v_add_u32_e32 v6, -1, v6
	v_addc_co_u32_e32 v3, vcc, 0, v3, vcc
	v_cmp_eq_u32_e32 vcc, 0, v6
	s_or_b64 s[18:19], vcc, s[18:19]
	s_waitcnt vmcnt(0) lgkmcnt(0)
	flat_store_dword v[4:5], v8
	v_add_co_u32_e32 v4, vcc, 4, v4
	v_addc_co_u32_e32 v5, vcc, 0, v5, vcc
	s_andn2_b64 exec, exec, s[18:19]
	s_cbranch_execnz .LBB7_39
; %bb.40:                               ;   in Loop: Header=BB7_15 Depth=1
	s_or_b64 exec, exec, s[18:19]
	s_mov_b64 s[18:19], 0
	v_mov_b32_e32 v2, v7
	v_mov_b32_e32 v3, v43
.LBB7_41:                               ;   Parent Loop BB7_15 Depth=1
                                        ; =>  This Inner Loop Header: Depth=2
	flat_load_dword v4, v[0:1]
	v_add_co_u32_e32 v0, vcc, 4, v0
	v_add_u32_e32 v2, -1, v2
	v_addc_co_u32_e32 v1, vcc, 0, v1, vcc
	v_cmp_eq_u32_e32 vcc, 0, v2
	s_or_b64 s[18:19], vcc, s[18:19]
	s_waitcnt vmcnt(0) lgkmcnt(0)
	buffer_store_dword v4, v3, s[0:3], 0 offen
	v_add_u32_e32 v3, 4, v3
	s_andn2_b64 exec, exec, s[18:19]
	s_cbranch_execnz .LBB7_41
.LBB7_42:                               ;   in Loop: Header=BB7_15 Depth=1
	s_or_b64 exec, exec, s[16:17]
	buffer_load_dword v0, v41, s[0:3], 0 offen offset:28
	s_mov_b64 s[18:19], exec
	s_xor_b64 s[16:17], exec, -1
	s_waitcnt vmcnt(0)
	v_cmp_ge_i32_e32 vcc, v0, v7
	s_and_b64 s[20:21], vcc, exec
.LBB7_43:                               ;   in Loop: Header=BB7_15 Depth=1
	s_or_b64 exec, exec, s[12:13]
	s_andn2_b64 s[8:9], s[8:9], exec
	s_and_b64 s[12:13], s[18:19], exec
	s_or_b64 s[18:19], s[8:9], s[12:13]
	s_and_b64 s[12:13], s[16:17], exec
	s_or_b64 s[16:17], s[8:9], s[12:13]
	s_andn2_b64 s[10:11], s[10:11], exec
	s_and_b64 s[12:13], s[20:21], exec
.LBB7_44:                               ;   in Loop: Header=BB7_15 Depth=1
	s_or_b64 exec, exec, s[14:15]
	v_readlane_b32 s22, v121, 45
	v_readlane_b32 s23, v121, 46
	s_andn2_b64 s[14:15], s[22:23], exec
	s_and_b64 s[20:21], s[8:9], exec
	s_or_b64 s[70:71], s[14:15], s[20:21]
	s_and_b64 s[20:21], s[8:9], exec
	s_or_b64 s[68:69], s[14:15], s[20:21]
	s_and_b64 s[20:21], s[8:9], exec
	s_or_b64 s[64:65], s[14:15], s[20:21]
	s_and_b64 s[20:21], s[8:9], exec
	s_or_b64 s[62:63], s[14:15], s[20:21]
	s_and_b64 s[20:21], s[8:9], exec
	s_or_b64 s[60:61], s[14:15], s[20:21]
	s_and_b64 s[20:21], s[8:9], exec
	s_or_b64 s[58:59], s[14:15], s[20:21]
	s_and_b64 s[20:21], s[8:9], exec
	s_or_b64 s[56:57], s[14:15], s[20:21]
	s_and_b64 s[20:21], s[8:9], exec
	s_or_b64 s[54:55], s[14:15], s[20:21]
	s_and_b64 s[20:21], s[8:9], exec
	s_or_b64 s[52:53], s[14:15], s[20:21]
	s_and_b64 s[20:21], s[8:9], exec
	s_or_b64 s[50:51], s[14:15], s[20:21]
	s_and_b64 s[20:21], s[8:9], exec
	s_or_b64 s[48:49], s[14:15], s[20:21]
	s_and_b64 s[20:21], s[8:9], exec
	s_or_b64 s[46:47], s[14:15], s[20:21]
	s_and_b64 s[20:21], s[8:9], exec
	s_or_b64 s[44:45], s[14:15], s[20:21]
	s_and_b64 s[20:21], s[8:9], exec
	s_or_b64 s[42:43], s[14:15], s[20:21]
	s_and_b64 s[20:21], s[8:9], exec
	s_or_b64 s[40:41], s[14:15], s[20:21]
	s_and_b64 s[20:21], s[8:9], exec
	s_or_b64 s[38:39], s[14:15], s[20:21]
	s_and_b64 s[20:21], s[8:9], exec
	s_or_b64 s[36:37], s[14:15], s[20:21]
	s_and_b64 s[20:21], s[8:9], exec
	s_or_b64 s[34:35], s[14:15], s[20:21]
	s_and_b64 s[20:21], s[8:9], exec
	s_or_b64 s[30:31], s[14:15], s[20:21]
	s_and_b64 s[20:21], s[8:9], exec
	s_or_b64 s[28:29], s[14:15], s[20:21]
	s_and_b64 s[20:21], s[8:9], exec
	s_or_b64 s[20:21], s[14:15], s[20:21]
	v_writelane_b32 v121, s20, 49
	s_and_b64 s[10:11], s[10:11], exec
	v_writelane_b32 v121, s21, 50
	s_or_b64 s[10:11], s[14:15], s[10:11]
	s_and_b64 s[20:21], s[8:9], exec
	v_writelane_b32 v121, s10, 51
	s_or_b64 s[26:27], s[14:15], s[20:21]
	s_and_b64 s[20:21], s[8:9], exec
	v_writelane_b32 v121, s11, 52
	s_and_b64 s[10:11], s[8:9], exec
	s_or_b64 s[24:25], s[14:15], s[20:21]
	s_and_b64 s[20:21], s[8:9], exec
	s_and_b64 s[18:19], s[18:19], exec
	;; [unrolled: 1-line block ×3, first 2 shown]
	s_or_b64 s[10:11], s[14:15], s[10:11]
	s_or_b64 s[20:21], s[14:15], s[20:21]
	;; [unrolled: 1-line block ×4, first 2 shown]
	v_writelane_b32 v121, s10, 53
	s_and_b64 s[8:9], s[8:9], exec
	v_writelane_b32 v121, s11, 54
	s_or_b64 s[66:67], s[14:15], s[8:9]
	s_mov_b64 s[14:15], s[18:19]
	s_mov_b64 s[18:19], s[24:25]
	;; [unrolled: 1-line block ×12, first 2 shown]
	s_and_b64 s[8:9], s[12:13], exec
	s_mov_b64 s[12:13], s[16:17]
	s_mov_b64 s[16:17], s[20:21]
	;; [unrolled: 1-line block ×13, first 2 shown]
	s_andn2_b64 s[4:5], s[4:5], exec
.LBB7_45:                               ;   in Loop: Header=BB7_15 Depth=1
	s_or_b64 exec, exec, s[6:7]
	s_and_saveexec_b64 s[6:7], s[4:5]
	s_cbranch_execz .LBB7_47
; %bb.46:                               ;   in Loop: Header=BB7_15 Depth=1
	buffer_load_dword v0, v41, s[0:3], 0 offen offset:28
	v_readlane_b32 s4, v121, 49
	v_readlane_b32 s5, v121, 50
	s_andn2_b64 s[4:5], s[4:5], exec
	v_writelane_b32 v121, s4, 49
	v_writelane_b32 v121, s5, 50
	v_readlane_b32 s4, v121, 51
	v_readlane_b32 s5, v121, 52
	s_andn2_b64 s[4:5], s[4:5], exec
	v_writelane_b32 v121, s4, 51
	v_writelane_b32 v121, s5, 52
	;; [unrolled: 5-line block ×3, first 2 shown]
	s_andn2_b64 s[4:5], s[8:9], exec
	v_readlane_b32 s22, v121, 45
	s_andn2_b64 s[64:65], s[64:65], exec
	s_andn2_b64 s[62:63], s[62:63], exec
	;; [unrolled: 1-line block ×22, first 2 shown]
	s_or_b64 s[16:17], s[16:17], exec
	s_andn2_b64 s[14:15], s[14:15], exec
	s_andn2_b64 s[12:13], s[12:13], exec
	;; [unrolled: 1-line block ×3, first 2 shown]
	v_readlane_b32 s23, v121, 46
	buffer_store_dword v77, v41, s[0:3], 0 offen offset:32
	s_waitcnt vmcnt(1)
	v_cmp_ge_i32_e32 vcc, v0, v7
	s_and_b64 s[8:9], vcc, exec
	s_or_b64 s[8:9], s[4:5], s[8:9]
.LBB7_47:                               ;   in Loop: Header=BB7_15 Depth=1
	v_writelane_b32 v121, s64, 55
	v_writelane_b32 v121, s65, 56
	;; [unrolled: 1-line block ×8, first 2 shown]
                                        ; implicit-def: $vgpr122 : SGPR spill to VGPR lane
	v_writelane_b32 v121, s56, 63
	v_writelane_b32 v122, s57, 0
	;; [unrolled: 1-line block ×42, first 2 shown]
	s_or_b64 exec, exec, s[6:7]
	s_mov_b64 s[4:5], -1
	s_mov_b64 s[6:7], exec
	v_writelane_b32 v122, s6, 41
	v_writelane_b32 v122, s7, 42
	s_and_b64 s[6:7], s[6:7], s[8:9]
	s_mov_b64 exec, s[6:7]
	s_cbranch_execz .LBB7_11
; %bb.48:                               ;   in Loop: Header=BB7_15 Depth=1
	v_writelane_b32 v122, s66, 43
	v_writelane_b32 v122, s67, 44
	s_mov_b64 s[6:7], 0
	s_mov_b64 s[8:9], 0
	s_mov_b64 s[10:11], 0
	s_mov_b64 s[12:13], 0
	s_mov_b64 s[14:15], 0
	s_mov_b64 s[16:17], 0
	s_mov_b64 s[18:19], -1
	s_mov_b64 s[20:21], 0
	s_mov_b64 s[22:23], 0
	;; [unrolled: 1-line block ×22, first 2 shown]
	buffer_store_dword v7, v41, s[0:3], 0 offen offset:28
	v_cmp_gt_i32_e32 vcc, 16, v40
	s_mov_b64 s[66:67], exec
	v_writelane_b32 v122, s66, 45
	v_writelane_b32 v122, s67, 46
	s_and_b64 s[66:67], s[66:67], vcc
	s_mov_b64 exec, s[66:67]
	s_cbranch_execz .LBB7_10
; %bb.49:                               ;   in Loop: Header=BB7_15 Depth=1
	v_mov_b32_e32 v0, 0x9038
	v_cmp_lt_i32_e32 vcc, 0, v7
	s_mov_b64 s[96:97], 0
	s_mov_b64 s[4:5], 0
	;; [unrolled: 1-line block ×3, first 2 shown]
	buffer_store_dword v40, v0, s[0:3], 0 offen
                                        ; implicit-def: $vgpr6
	s_and_saveexec_b64 s[6:7], vcc
	s_xor_b64 s[6:7], exec, s[6:7]
	s_cbranch_execz .LBB7_55
; %bb.50:                               ;   in Loop: Header=BB7_15 Depth=1
	v_cmp_eq_u32_e32 vcc, 1, v7
	s_mov_b64 s[4:5], -1
                                        ; implicit-def: $vgpr6
	s_and_saveexec_b64 s[8:9], vcc
	s_cbranch_execz .LBB7_54
; %bb.51:                               ;   in Loop: Header=BB7_15 Depth=1
	buffer_load_dword v0, v41, s[0:3], 0 offen offset:32
                                        ; implicit-def: $vgpr6
	s_waitcnt vmcnt(0)
	v_cmp_ne_u32_e32 vcc, 0, v0
	v_cmp_eq_u32_e64 s[4:5], 0, v0
	s_and_saveexec_b64 s[12:13], s[4:5]
	s_xor_b64 s[4:5], exec, s[12:13]
	s_cbranch_execz .LBB7_53
; %bb.52:                               ;   in Loop: Header=BB7_15 Depth=1
	v_add_u32_e32 v6, 1, v40
	v_mov_b32_e32 v0, 0x9038
	s_mov_b64 s[10:11], exec
	buffer_store_dword v6, v0, s[0:3], 0 offen
	v_lshl_add_u32 v0, v40, 3, v44
	buffer_store_dword v77, v0, s[0:3], 0 offen offset:4
	buffer_store_dword v77, v0, s[0:3], 0 offen
.LBB7_53:                               ;   in Loop: Header=BB7_15 Depth=1
	s_or_b64 exec, exec, s[4:5]
	s_and_b64 s[10:11], s[10:11], exec
	s_orn2_b64 s[4:5], vcc, exec
.LBB7_54:                               ;   in Loop: Header=BB7_15 Depth=1
	s_or_b64 exec, exec, s[8:9]
	s_and_b64 s[94:95], s[10:11], exec
	s_and_b64 s[4:5], s[4:5], exec
.LBB7_55:                               ;   in Loop: Header=BB7_15 Depth=1
	s_andn2_saveexec_b64 s[6:7], s[6:7]
; %bb.56:                               ;   in Loop: Header=BB7_15 Depth=1
	v_cmp_ne_u32_e32 vcc, 0, v7
	s_andn2_b64 s[4:5], s[4:5], exec
	s_and_b64 s[8:9], vcc, exec
	s_mov_b64 s[96:97], exec
	s_or_b64 s[4:5], s[4:5], s[8:9]
                                        ; implicit-def: $vgpr6
; %bb.57:                               ;   in Loop: Header=BB7_15 Depth=1
	s_or_b64 exec, exec, s[6:7]
	s_mov_b64 s[6:7], -1
	v_writelane_b32 v122, s6, 47
	v_writelane_b32 v122, s7, 48
	s_mov_b64 s[6:7], 0
	v_writelane_b32 v122, s6, 49
	v_lshlrev_b32_e32 v0, 4, v92
	v_writelane_b32 v122, s7, 50
	s_mov_b64 s[6:7], 0
	v_ashrrev_i32_e32 v1, 31, v0
	v_readlane_b32 s8, v120, 26
	v_writelane_b32 v122, s6, 51
	v_lshlrev_b64 v[94:95], 2, v[0:1]
	v_readlane_b32 s10, v120, 28
	v_readlane_b32 s11, v120, 29
	v_writelane_b32 v122, s7, 52
	s_mov_b64 s[6:7], 0
	v_mov_b32_e32 v0, s11
	v_add_co_u32_e32 v104, vcc, s10, v94
	v_writelane_b32 v122, s6, 53
	v_addc_co_u32_e32 v105, vcc, v0, v95, vcc
	v_writelane_b32 v122, s7, 54
	v_mov_b32_e32 v111, v6
	v_readlane_b32 s9, v120, 27
	v_readlane_b32 s12, v120, 30
	;; [unrolled: 1-line block ×5, first 2 shown]
	s_and_saveexec_b64 s[98:99], s[4:5]
	s_cbranch_execz .LBB7_77
; %bb.58:                               ;   in Loop: Header=BB7_15 Depth=1
	v_cmp_lt_i32_e32 vcc, 0, v7
	s_mov_b64 s[8:9], -1
	s_mov_b64 s[6:7], 0
	v_pk_mov_b32 v[0:1], 0, 0
	s_mov_b64 s[16:17], -1
	s_mov_b64 s[12:13], 0
	buffer_store_dword v77, v41, s[0:3], 0 offen offset:16
	s_and_saveexec_b64 s[4:5], vcc
	s_cbranch_execz .LBB7_62
; %bb.59:                               ;   in Loop: Header=BB7_15 Depth=1
	s_movk_i32 s8, 0x1001
	v_cmp_gt_u32_e32 vcc, s8, v7
	s_mov_b64 s[8:9], 0
	v_pk_mov_b32 v[0:1], 0, 0
	s_and_saveexec_b64 s[10:11], vcc
	s_cbranch_execz .LBB7_61
; %bb.60:                               ;   in Loop: Header=BB7_15 Depth=1
	v_lshlrev_b32_e32 v0, 1, v7
	buffer_store_dword v0, v41, s[0:3], 0 offen offset:28
	v_lshl_add_u32 v0, v7, 3, v42
	v_lshlrev_b32_e32 v1, 2, v7
	v_sub_u32_e32 v0, v0, v1
	s_mov_b64 s[12:13], src_private_base
	s_mov_b64 s[8:9], exec
	v_add_u32_e32 v0, 4, v0
	v_mov_b32_e32 v1, s13
.LBB7_61:                               ;   in Loop: Header=BB7_15 Depth=1
	s_or_b64 exec, exec, s[10:11]
	s_mov_b64 s[12:13], exec
	s_xor_b64 s[16:17], exec, -1
	s_orn2_b64 s[8:9], s[8:9], exec
.LBB7_62:                               ;   in Loop: Header=BB7_15 Depth=1
	s_or_b64 exec, exec, s[4:5]
	s_mov_b64 s[4:5], s[94:95]
	s_mov_b64 s[14:15], 0
                                        ; implicit-def: $vgpr6
                                        ; implicit-def: $vgpr111
	s_and_saveexec_b64 s[22:23], s[8:9]
	s_cbranch_execz .LBB7_76
; %bb.63:                               ;   in Loop: Header=BB7_15 Depth=1
	v_cmp_lt_i32_e32 vcc, 0, v7
	buffer_store_dword v1, v41, s[0:3], 0 offen offset:24
	buffer_store_dword v0, v41, s[0:3], 0 offen offset:20
	s_and_saveexec_b64 s[4:5], vcc
	s_cbranch_execz .LBB7_67
; %bb.64:                               ;   in Loop: Header=BB7_15 Depth=1
	v_mov_b32_e32 v2, v7
	v_mov_b32_e32 v3, v43
.LBB7_65:                               ;   Parent Loop BB7_15 Depth=1
                                        ; =>  This Inner Loop Header: Depth=2
	buffer_load_dword v4, v3, s[0:3], 0 offen
	v_add_u32_e32 v2, -1, v2
	v_cmp_eq_u32_e32 vcc, 0, v2
	s_or_b64 s[6:7], vcc, s[6:7]
	v_add_u32_e32 v3, 4, v3
	s_waitcnt vmcnt(0)
	v_lshrrev_b32_e32 v5, 1, v4
	v_or_b32_e32 v5, v5, v4
	v_and_b32_e32 v5, 0x55555555, v5
	v_lshl_add_u32 v5, v5, 1, v5
	v_xor_b32_e32 v4, v5, v4
	flat_store_dword v[0:1], v4
	v_add_co_u32_e32 v0, vcc, 4, v0
	v_addc_co_u32_e32 v1, vcc, 0, v1, vcc
	s_andn2_b64 exec, exec, s[6:7]
	s_cbranch_execnz .LBB7_65
; %bb.66:                               ;   in Loop: Header=BB7_15 Depth=1
	s_or_b64 exec, exec, s[6:7]
	buffer_store_dword v7, v41, s[0:3], 0 offen offset:16
.LBB7_67:                               ;   in Loop: Header=BB7_15 Depth=1
	v_writelane_b32 v122, s22, 55
	v_writelane_b32 v122, s23, 56
	;; [unrolled: 1-line block ×6, first 2 shown]
	s_or_b64 exec, exec, s[4:5]
	s_movk_i32 s6, 0x1020
	v_mov_b32_e32 v0, s6
	v_readlane_b32 s6, v120, 15
	v_mov_b32_e32 v1, s6
	s_movk_i32 s6, 0x1030
	v_mov_b32_e32 v3, s6
	s_mov_b64 s[6:7], src_private_base
	v_readlane_b32 s4, v120, 0
	s_mov_b32 s6, 0x9038
	v_readlane_b32 s5, v120, 1
	s_add_u32 s8, s4, 0x80
	v_mov_b32_e32 v5, s6
	v_readlane_b32 s6, v120, 12
	v_lshlrev_b32_e32 v2, 1, v40
	s_addc_u32 s9, s5, 0
	v_mov_b32_e32 v4, s7
	v_mov_b32_e32 v6, s6
	s_getpc_b64 s[4:5]
	s_add_u32 s4, s4, _ZN3sop12sopFactorRecEPNS_3SopEiP7VecsMemIjLi8192EEPN8subgUtil4SubgILi256EEE@rel32@lo+4
	s_addc_u32 s5, s5, _ZN3sop12sopFactorRecEPNS_3SopEiP7VecsMemIjLi8192EEPN8subgUtil4SubgILi256EEE@rel32@hi+12
	s_swappc_b64 s[30:31], s[4:5]
	v_mov_b32_e32 v1, 0x9038
	buffer_load_dword v6, v1, s[0:3], 0 offen
	v_ashrrev_i32_e32 v2, 1, v0
	v_cmp_ge_i32_e32 vcc, v2, v40
	s_mov_b64 s[4:5], s[94:95]
                                        ; implicit-def: $vgpr111
	s_and_saveexec_b64 s[6:7], vcc
	s_xor_b64 s[6:7], exec, s[6:7]
; %bb.68:                               ;   in Loop: Header=BB7_15 Depth=1
	v_add_u32_e32 v111, 1, v40
	s_or_b64 s[4:5], s[94:95], exec
                                        ; implicit-def: $vgpr2
                                        ; implicit-def: $vgpr0
; %bb.69:                               ;   in Loop: Header=BB7_15 Depth=1
	s_or_saveexec_b64 s[6:7], s[6:7]
	v_readlane_b32 s20, v122, 57
	v_readlane_b32 s18, v122, 59
	;; [unrolled: 1-line block ×5, first 2 shown]
	s_mov_b64 s[10:11], 0
	s_mov_b64 s[8:9], s[20:21]
	;; [unrolled: 1-line block ×4, first 2 shown]
	v_readlane_b32 s23, v122, 56
	v_readlane_b32 s33, v120, 44
	s_xor_b64 exec, exec, s[6:7]
	s_cbranch_execz .LBB7_75
; %bb.70:                               ;   in Loop: Header=BB7_15 Depth=1
	s_waitcnt vmcnt(0)
	v_cmp_eq_u32_e32 vcc, v6, v40
	s_mov_b64 s[12:13], -1
	s_mov_b64 s[16:17], s[4:5]
                                        ; implicit-def: $vgpr6
	s_and_saveexec_b64 s[8:9], vcc
	s_cbranch_execz .LBB7_74
; %bb.71:                               ;   in Loop: Header=BB7_15 Depth=1
	v_ashrrev_i32_e32 v3, 31, v2
	v_lshlrev_b64 v[2:3], 2, v[2:3]
	v_add_co_u32_e32 v2, vcc, v104, v2
	v_addc_co_u32_e32 v3, vcc, v105, v3, vcc
	global_load_dword v1, v[2:3], off
	s_mov_b64 s[14:15], s[4:5]
                                        ; implicit-def: $vgpr6
	s_waitcnt vmcnt(0)
	v_lshlrev_b32_e32 v1, 1, v1
	v_cmp_lt_i32_e32 vcc, -1, v1
	s_and_saveexec_b64 s[10:11], vcc
	s_xor_b64 s[10:11], exec, s[10:11]
	s_cbranch_execz .LBB7_73
; %bb.72:                               ;   in Loop: Header=BB7_15 Depth=1
	v_and_b32_e32 v0, 1, v0
	v_add_u32_e32 v6, 1, v40
	v_mov_b32_e32 v2, 0x9038
	v_or_b32_e32 v1, v1, v0
	buffer_store_dword v6, v2, s[0:3], 0 offen
	v_lshl_add_u32 v2, v40, 3, v44
	v_lshl_or_b32 v0, v1, 1, v0
	buffer_store_dword v1, v2, s[0:3], 0 offen offset:4
	buffer_store_dword v0, v2, s[0:3], 0 offen
	s_or_b64 s[14:15], s[4:5], exec
.LBB7_73:                               ;   in Loop: Header=BB7_15 Depth=1
	s_or_b64 exec, exec, s[10:11]
	s_andn2_b64 s[16:17], s[4:5], exec
	s_and_b64 s[14:15], s[14:15], exec
	s_mov_b64 s[10:11], exec
	s_xor_b64 s[12:13], exec, -1
	s_or_b64 s[16:17], s[16:17], s[14:15]
.LBB7_74:                               ;   in Loop: Header=BB7_15 Depth=1
	s_or_b64 exec, exec, s[8:9]
	s_andn2_b64 s[4:5], s[4:5], exec
	s_and_b64 s[16:17], s[16:17], exec
	s_and_b64 s[14:15], s[10:11], exec
	;; [unrolled: 1-line block ×3, first 2 shown]
	s_andn2_b64 s[12:13], s[18:19], exec
	s_andn2_b64 s[8:9], s[20:21], exec
	s_or_b64 s[4:5], s[4:5], s[16:17]
	v_mov_b32_e32 v111, v6
.LBB7_75:                               ;   in Loop: Header=BB7_15 Depth=1
	s_or_b64 exec, exec, s[6:7]
	s_and_b64 s[6:7], s[10:11], exec
	s_andn2_b64 s[10:11], s[18:19], exec
	s_and_b64 s[12:13], s[12:13], exec
	s_or_b64 s[12:13], s[10:11], s[12:13]
	s_andn2_b64 s[10:11], s[20:21], exec
	s_and_b64 s[8:9], s[8:9], exec
	s_or_b64 s[16:17], s[10:11], s[8:9]
	s_andn2_b64 s[8:9], s[94:95], exec
	s_and_b64 s[4:5], s[4:5], exec
	s_and_b64 s[14:15], s[14:15], exec
	s_or_b64 s[4:5], s[8:9], s[4:5]
.LBB7_76:                               ;   in Loop: Header=BB7_15 Depth=1
	s_or_b64 exec, exec, s[22:23]
	s_and_b64 s[8:9], s[14:15], exec
	v_writelane_b32 v122, s8, 53
	v_writelane_b32 v122, s9, 54
	s_and_b64 s[6:7], s[6:7], exec
	v_writelane_b32 v122, s6, 51
	v_writelane_b32 v122, s7, 52
	;; [unrolled: 3-line block ×3, first 2 shown]
	s_orn2_b64 s[6:7], s[16:17], exec
	v_writelane_b32 v122, s6, 47
	v_writelane_b32 v122, s7, 48
	s_andn2_b64 s[6:7], s[94:95], exec
	s_and_b64 s[4:5], s[4:5], exec
	s_or_b64 s[94:95], s[6:7], s[4:5]
	s_andn2_b64 s[96:97], s[96:97], exec
.LBB7_77:                               ;   in Loop: Header=BB7_15 Depth=1
	s_or_b64 exec, exec, s[98:99]
	s_and_saveexec_b64 s[4:5], s[96:97]
	s_cbranch_execz .LBB7_79
; %bb.78:                               ;   in Loop: Header=BB7_15 Depth=1
	s_waitcnt vmcnt(0)
	v_add_u32_e32 v6, 1, v40
	v_mov_b32_e32 v0, 0x9038
	buffer_store_dword v6, v0, s[0:3], 0 offen
	v_lshl_add_u32 v0, v40, 3, v44
	s_or_b64 s[94:95], s[94:95], exec
	v_mov_b32_e32 v111, v6
	buffer_store_dword v58, v0, s[0:3], 0 offen offset:4
	buffer_store_dword v59, v0, s[0:3], 0 offen
.LBB7_79:                               ;   in Loop: Header=BB7_15 Depth=1
	s_or_b64 exec, exec, s[4:5]
	s_mov_b64 s[4:5], -1
	s_mov_b64 s[6:7], 0
	s_mov_b64 s[8:9], 0
	;; [unrolled: 1-line block ×25, first 2 shown]
	s_mov_b64 s[58:59], exec
	v_writelane_b32 v122, s58, 61
	v_writelane_b32 v122, s59, 62
	s_and_b64 s[58:59], s[58:59], s[94:95]
	s_mov_b64 exec, s[58:59]
	s_cbranch_execz .LBB7_9
; %bb.80:                               ;   in Loop: Header=BB7_15 Depth=1
                                        ; implicit-def: $vgpr123 : SGPR spill to VGPR lane
	v_writelane_b32 v122, s6, 63
	v_writelane_b32 v123, s7, 0
	s_mov_b64 s[6:7], 0
	v_writelane_b32 v123, s6, 1
	s_waitcnt vmcnt(0)
	v_cmp_ne_u32_e64 s[4:5], v6, v111
	v_cmp_eq_u32_e32 vcc, v6, v111
	v_writelane_b32 v123, s7, 2
                                        ; implicit-def: $sgpr8
	s_and_saveexec_b64 s[6:7], vcc
	s_cbranch_execz .LBB7_82
; %bb.81:                               ;   in Loop: Header=BB7_15 Depth=1
	v_lshl_add_u32 v0, v40, 3, v44
	buffer_load_dword v1, v0, s[0:3], 0 offen
	s_nop 0
	buffer_load_dword v0, v0, s[0:3], 0 offen offset:4
	s_mov_b64 s[8:9], exec
	v_writelane_b32 v123, s8, 1
	s_andn2_b64 s[4:5], s[4:5], exec
	v_writelane_b32 v123, s9, 2
	s_mov_b32 s8, 0
	s_waitcnt vmcnt(1)
	v_lshrrev_b32_e32 v1, 1, v1
	s_waitcnt vmcnt(0)
	v_cmp_ne_u32_e32 vcc, v1, v0
	s_and_b64 s[10:11], vcc, exec
	s_or_b64 s[4:5], s[4:5], s[10:11]
.LBB7_82:                               ;   in Loop: Header=BB7_15 Depth=1
	s_or_b64 exec, exec, s[6:7]
	s_mov_b64 s[6:7], 0
	v_writelane_b32 v123, s6, 3
	v_writelane_b32 v123, s7, 4
	s_mov_b64 s[6:7], 0
	v_writelane_b32 v123, s6, 5
	v_writelane_b32 v123, s7, 6
	;; [unrolled: 3-line block ×4, first 2 shown]
	v_readlane_b32 s6, v122, 49
	v_readlane_b32 s7, v122, 50
	v_writelane_b32 v123, s6, 11
	v_writelane_b32 v123, s7, 12
	v_readlane_b32 s6, v122, 51
	v_readlane_b32 s7, v122, 52
	v_writelane_b32 v123, s6, 13
	v_writelane_b32 v123, s7, 14
	;; [unrolled: 4-line block ×3, first 2 shown]
	s_mov_b64 s[6:7], 0
	v_writelane_b32 v123, s6, 17
	v_writelane_b32 v123, s7, 18
	s_mov_b64 s[6:7], 0
	v_writelane_b32 v123, s6, 19
	v_writelane_b32 v123, s7, 20
	s_mov_b64 s[6:7], 0
	v_writelane_b32 v123, s6, 21
	v_writelane_b32 v123, s7, 22
	s_mov_b64 s[6:7], 0
	v_writelane_b32 v123, s6, 23
	v_writelane_b32 v123, s7, 24
	s_mov_b64 s[6:7], 0
	v_readlane_b32 s18, v122, 47
	v_writelane_b32 v123, s6, 25
	v_mov_b32_e32 v93, s8
	s_mov_b64 s[8:9], 0
	v_readlane_b32 s19, v122, 48
	v_writelane_b32 v123, s7, 26
	s_mov_b64 s[6:7], exec
	v_writelane_b32 v123, s6, 27
	v_writelane_b32 v123, s7, 28
	s_and_b64 s[4:5], s[6:7], s[4:5]
                                        ; implicit-def: $vgpr124 : SGPR spill to VGPR lane
	s_mov_b64 exec, s[4:5]
	s_cbranch_execz .LBB7_126
; %bb.83:                               ;   in Loop: Header=BB7_15 Depth=1
	v_cmp_lt_i32_e32 vcc, 0, v40
	s_and_saveexec_b64 s[4:5], vcc
	s_cbranch_execz .LBB7_91
; %bb.84:                               ;   in Loop: Header=BB7_15 Depth=1
	v_cmp_ne_u32_e32 vcc, 1, v40
	s_mov_b64 s[8:9], -1
	v_mov_b32_e32 v76, 0
	s_and_saveexec_b64 s[6:7], vcc
	s_cbranch_execz .LBB7_88
; %bb.85:                               ;   in Loop: Header=BB7_15 Depth=1
	v_and_b32_e32 v76, 0x7ffffffe, v40
	v_readlane_b32 s12, v120, 36
	v_mov_b32_e32 v2, 0x810
	v_mov_b32_e32 v3, 0xc10
	s_mov_b64 s[8:9], 0
	v_mov_b32_e32 v4, v76
	v_pk_mov_b32 v[0:1], v[104:105], v[104:105] op_sel:[0,1]
	v_readlane_b32 s13, v120, 37
	v_readlane_b32 s14, v120, 38
	;; [unrolled: 1-line block ×7, first 2 shown]
.LBB7_86:                               ;   Parent Loop BB7_15 Depth=1
                                        ; =>  This Inner Loop Header: Depth=2
	global_load_dwordx2 v[8:9], v[0:1], off
	v_mov_b32_e32 v5, s13
	v_add_u32_e32 v4, -2, v4
	s_waitcnt vmcnt(0)
	buffer_store_dword v9, v2, s[0:3], 0 offen offset:4
	v_ashrrev_i32_e32 v11, 31, v9
	v_mov_b32_e32 v10, v9
	v_ashrrev_i32_e32 v9, 31, v8
	v_lshlrev_b64 v[12:13], 2, v[8:9]
	v_add_co_u32_e32 v12, vcc, s12, v12
	v_lshlrev_b64 v[10:11], 2, v[10:11]
	v_addc_co_u32_e32 v13, vcc, v5, v13, vcc
	v_add_co_u32_e32 v10, vcc, s12, v10
	v_addc_co_u32_e32 v11, vcc, v5, v11, vcc
	global_load_dword v5, v[10:11], off
	global_load_dword v7, v[12:13], off
	v_add_co_u32_e32 v0, vcc, 8, v0
	v_addc_co_u32_e32 v1, vcc, 0, v1, vcc
	v_cmp_eq_u32_e32 vcc, 0, v4
	s_or_b64 s[8:9], vcc, s[8:9]
	buffer_store_dword v8, v2, s[0:3], 0 offen
	v_add_u32_e32 v2, 8, v2
	s_waitcnt vmcnt(2)
	buffer_store_dword v5, v3, s[0:3], 0 offen offset:4
	s_waitcnt vmcnt(2)
	buffer_store_dword v7, v3, s[0:3], 0 offen
	v_add_u32_e32 v3, 8, v3
	s_andn2_b64 exec, exec, s[8:9]
	s_cbranch_execnz .LBB7_86
; %bb.87:                               ;   in Loop: Header=BB7_15 Depth=1
	s_or_b64 exec, exec, s[8:9]
	v_cmp_ne_u32_e32 vcc, v40, v76
	s_orn2_b64 s[8:9], vcc, exec
.LBB7_88:                               ;   in Loop: Header=BB7_15 Depth=1
	s_or_b64 exec, exec, s[6:7]
	v_readlane_b32 s16, v120, 36
	s_and_b64 s[6:7], exec, s[8:9]
	v_readlane_b32 s17, v120, 37
	v_readlane_b32 s18, v120, 38
	;; [unrolled: 1-line block ×7, first 2 shown]
	s_mov_b64 exec, s[6:7]
	s_cbranch_execz .LBB7_91
; %bb.89:                               ;   in Loop: Header=BB7_15 Depth=1
	v_lshlrev_b32_e32 v0, 2, v76
	v_add_u32_e32 v3, 0xc10, v0
	v_add_u32_e32 v4, 0x810, v0
	v_lshlrev_b64 v[0:1], 2, v[76:77]
	v_add_co_u32_e32 v0, vcc, v94, v0
	v_readlane_b32 s8, v120, 26
	v_addc_co_u32_e32 v1, vcc, v95, v1, vcc
	v_readlane_b32 s10, v120, 28
	v_readlane_b32 s11, v120, 29
	v_mov_b32_e32 v5, s11
	v_add_co_u32_e32 v0, vcc, s10, v0
	v_sub_u32_e32 v2, v40, v76
	v_addc_co_u32_e32 v1, vcc, v5, v1, vcc
	s_mov_b64 s[6:7], 0
	v_readlane_b32 s9, v120, 27
	v_readlane_b32 s12, v120, 30
	;; [unrolled: 1-line block ×5, first 2 shown]
.LBB7_90:                               ;   Parent Loop BB7_15 Depth=1
                                        ; =>  This Inner Loop Header: Depth=2
	global_load_dword v8, v[0:1], off
	v_mov_b32_e32 v5, s17
	v_add_u32_e32 v2, -1, v2
	s_waitcnt vmcnt(0)
	v_ashrrev_i32_e32 v9, 31, v8
	v_lshlrev_b64 v[10:11], 2, v[8:9]
	v_add_co_u32_e32 v10, vcc, s16, v10
	v_addc_co_u32_e32 v11, vcc, v5, v11, vcc
	global_load_dword v5, v[10:11], off
	v_add_co_u32_e32 v0, vcc, 4, v0
	v_addc_co_u32_e32 v1, vcc, 0, v1, vcc
	v_cmp_eq_u32_e32 vcc, 0, v2
	s_or_b64 s[6:7], vcc, s[6:7]
	buffer_store_dword v8, v4, s[0:3], 0 offen
	v_add_u32_e32 v4, 4, v4
	s_waitcnt vmcnt(1)
	buffer_store_dword v5, v3, s[0:3], 0 offen
	v_add_u32_e32 v3, 4, v3
	s_andn2_b64 exec, exec, s[6:7]
	s_cbranch_execnz .LBB7_90
.LBB7_91:                               ;   in Loop: Header=BB7_15 Depth=1
	s_or_b64 exec, exec, s[4:5]
	v_readlane_b32 s18, v122, 47
	v_readlane_b32 s20, v122, 49
	;; [unrolled: 1-line block ×4, first 2 shown]
	s_mov_b64 s[66:67], -1
	s_mov_b64 s[4:5], 0
	v_mov_b32_e32 v0, 0
	s_mov_b64 s[6:7], 0
	s_mov_b64 s[8:9], 0
	;; [unrolled: 1-line block ×6, first 2 shown]
	v_readlane_b32 s19, v122, 48
	v_readlane_b32 s21, v122, 50
	;; [unrolled: 1-line block ×4, first 2 shown]
	s_mov_b64 s[26:27], 0
	s_mov_b64 s[28:29], 0
	;; [unrolled: 1-line block ×19, first 2 shown]
	v_cmp_gt_i32_e32 vcc, v6, v40
                                        ; implicit-def: $vgpr93
	s_mov_b64 s[68:69], exec
                                        ; implicit-def: $vgpr118 : SGPR spill to VGPR lane
	v_writelane_b32 v123, s68, 63
	v_writelane_b32 v118, s69, 0
	s_and_b64 s[68:69], s[68:69], vcc
	s_mov_b64 exec, s[68:69]
	s_cbranch_execz .LBB7_123
; %bb.92:                               ;   in Loop: Header=BB7_15 Depth=1
                                        ; implicit-def: $sgpr4_sgpr5
                                        ; kill: killed $sgpr4_sgpr5
	s_mov_b64 s[78:79], 0
                                        ; implicit-def: $sgpr4_sgpr5
                                        ; kill: killed $sgpr4_sgpr5
	v_mov_b32_e32 v7, 0
                                        ; implicit-def: $sgpr4_sgpr5
                                        ; kill: killed $sgpr4_sgpr5
	v_mov_b32_e32 v8, v40
                                        ; implicit-def: $sgpr4_sgpr5
                                        ; kill: killed $sgpr4_sgpr5
                                        ; implicit-def: $sgpr8_sgpr9
                                        ; implicit-def: $sgpr10_sgpr11
                                        ; implicit-def: $sgpr14_sgpr15
                                        ; implicit-def: $sgpr12_sgpr13
                                        ; implicit-def: $sgpr16_sgpr17
                                        ; implicit-def: $sgpr18_sgpr19
                                        ; implicit-def: $sgpr20_sgpr21
                                        ; implicit-def: $sgpr22_sgpr23
                                        ; implicit-def: $sgpr24_sgpr25
                                        ; implicit-def: $sgpr26_sgpr27
                                        ; implicit-def: $sgpr56_sgpr57
                                        ; implicit-def: $sgpr68_sgpr69
                                        ; implicit-def: $sgpr70_sgpr71
                                        ; implicit-def: $sgpr72_sgpr73
                                        ; implicit-def: $sgpr74_sgpr75
                                        ; implicit-def: $sgpr76_sgpr77
                                        ; implicit-def: $sgpr80_sgpr81
                                        ; implicit-def: $sgpr82_sgpr83
                                        ; implicit-def: $sgpr84_sgpr85
                                        ; implicit-def: $sgpr86_sgpr87
                                        ; implicit-def: $sgpr88_sgpr89
                                        ; implicit-def: $sgpr90_sgpr91
                                        ; implicit-def: $sgpr92_sgpr93
                                        ; implicit-def: $sgpr94_sgpr95
                                        ; implicit-def: $sgpr28_sgpr29
                                        ; implicit-def: $sgpr30_sgpr31
                                        ; implicit-def: $sgpr34_sgpr35
                                        ; implicit-def: $sgpr36_sgpr37
                                        ; implicit-def: $sgpr38_sgpr39
                                        ; implicit-def: $sgpr40_sgpr41
                                        ; implicit-def: $sgpr42_sgpr43
                                        ; implicit-def: $sgpr44_sgpr45
                                        ; implicit-def: $sgpr46_sgpr47
                                        ; implicit-def: $sgpr48_sgpr49
                                        ; implicit-def: $sgpr50_sgpr51
                                        ; implicit-def: $sgpr52_sgpr53
                                        ; implicit-def: $sgpr4_sgpr5
                                        ; kill: killed $sgpr4_sgpr5
                                        ; implicit-def: $sgpr4_sgpr5
                                        ; kill: killed $sgpr4_sgpr5
	;; [unrolled: 2-line block ×23, first 2 shown]
	s_branch .LBB7_98
.LBB7_93:                               ;   in Loop: Header=BB7_98 Depth=2
	s_or_b64 exec, exec, s[18:19]
	s_andn2_b64 s[10:11], s[10:11], exec
	s_and_b64 s[16:17], s[16:17], exec
	v_mov_b32_e32 v93, -1
	s_or_b64 s[10:11], s[10:11], s[16:17]
	s_andn2_b64 s[8:9], s[8:9], exec
	s_orn2_b64 s[16:17], s[14:15], exec
.LBB7_94:                               ;   in Loop: Header=BB7_98 Depth=2
	s_or_b64 exec, exec, s[12:13]
	s_andn2_b64 s[4:5], s[4:5], exec
	s_and_b64 s[10:11], s[10:11], exec
	s_andn2_b64 s[6:7], s[6:7], exec
	s_and_b64 s[8:9], s[8:9], exec
	s_or_b64 s[4:5], s[4:5], s[10:11]
	s_or_b64 s[6:7], s[6:7], s[8:9]
	s_orn2_b64 s[20:21], s[16:17], exec
.LBB7_95:                               ;   in Loop: Header=BB7_98 Depth=2
	s_or_b64 exec, exec, s[58:59]
	s_and_b64 s[26:27], s[4:5], exec
	s_mov_b64 s[4:5], s[20:21]
	s_orn2_b64 s[24:25], s[6:7], exec
	s_and_b64 s[22:23], s[56:57], exec
	s_and_b64 s[20:21], s[56:57], exec
	;; [unrolled: 1-line block ×11, first 2 shown]
	s_orn2_b64 s[92:93], s[60:61], exec
	s_and_b64 s[90:91], s[56:57], exec
	s_and_b64 s[88:89], s[56:57], exec
	;; [unrolled: 1-line block ×17, first 2 shown]
	s_orn2_b64 s[4:5], s[4:5], exec
.LBB7_96:                               ;   in Loop: Header=BB7_98 Depth=2
	v_readlane_b32 s56, v118, 49
	v_readlane_b32 s57, v118, 50
	s_or_b64 exec, exec, s[56:57]
	s_andn2_b64 s[52:53], s[52:53], exec
	s_and_b64 s[26:27], s[26:27], exec
	s_or_b64 s[52:53], s[52:53], s[26:27]
	s_andn2_b64 s[26:27], s[50:51], exec
	s_and_b64 s[24:25], s[24:25], exec
	s_or_b64 s[50:51], s[26:27], s[24:25]
	;; [unrolled: 3-line block ×12, first 2 shown]
	v_readlane_b32 s8, v118, 7
	v_readlane_b32 s9, v118, 8
	s_andn2_b64 s[8:9], s[8:9], exec
	s_and_b64 s[10:11], s[94:95], exec
	s_or_b64 s[94:95], s[8:9], s[10:11]
	v_readlane_b32 s8, v118, 9
	v_readlane_b32 s9, v118, 10
	s_andn2_b64 s[8:9], s[8:9], exec
	s_and_b64 s[10:11], s[92:93], exec
	s_or_b64 s[92:93], s[8:9], s[10:11]
	;; [unrolled: 5-line block ×19, first 2 shown]
	v_readlane_b32 s6, v118, 45
	v_readlane_b32 s7, v118, 46
	s_andn2_b64 s[6:7], s[6:7], exec
	s_and_b64 s[4:5], s[4:5], exec
	v_readlane_b32 s12, v118, 47
	s_or_b64 s[16:17], s[6:7], s[4:5]
	v_readlane_b32 s13, v118, 48
.LBB7_97:                               ;   in Loop: Header=BB7_98 Depth=2
	s_or_b64 exec, exec, s[54:55]
	s_xor_b64 s[4:5], s[52:53], -1
	s_xor_b64 s[6:7], s[50:51], -1
	s_and_b64 s[8:9], exec, s[16:17]
	s_or_b64 s[78:79], s[8:9], s[78:79]
	s_andn2_b64 s[8:9], s[12:13], exec
	s_and_b64 s[10:11], s[48:49], exec
	s_or_b64 s[12:13], s[8:9], s[10:11]
	v_readlane_b32 s8, v118, 51
	v_readlane_b32 s9, v118, 52
	s_andn2_b64 s[8:9], s[8:9], exec
	s_and_b64 s[10:11], s[46:47], exec
	s_or_b64 s[8:9], s[8:9], s[10:11]
	v_writelane_b32 v118, s8, 51
	v_writelane_b32 v118, s9, 52
	v_readlane_b32 s8, v118, 53
	v_readlane_b32 s9, v118, 54
	s_andn2_b64 s[8:9], s[8:9], exec
	s_and_b64 s[10:11], s[44:45], exec
	s_or_b64 s[8:9], s[8:9], s[10:11]
	v_writelane_b32 v118, s8, 53
	v_writelane_b32 v118, s9, 54
	v_readlane_b32 s8, v118, 55
	v_readlane_b32 s9, v118, 56
	s_andn2_b64 s[8:9], s[8:9], exec
	s_and_b64 s[10:11], s[42:43], exec
	s_or_b64 s[8:9], s[8:9], s[10:11]
	v_writelane_b32 v118, s8, 55
	v_writelane_b32 v118, s9, 56
	v_readlane_b32 s8, v118, 57
	v_readlane_b32 s9, v118, 58
	s_andn2_b64 s[8:9], s[8:9], exec
	s_and_b64 s[10:11], s[40:41], exec
	s_or_b64 s[8:9], s[8:9], s[10:11]
	v_writelane_b32 v118, s8, 57
	v_writelane_b32 v118, s9, 58
	v_readlane_b32 s8, v118, 59
	v_readlane_b32 s9, v118, 60
	s_andn2_b64 s[8:9], s[8:9], exec
	s_and_b64 s[10:11], s[38:39], exec
	s_or_b64 s[8:9], s[8:9], s[10:11]
	v_writelane_b32 v118, s8, 59
	v_writelane_b32 v118, s9, 60
	v_readlane_b32 s8, v118, 61
	v_readlane_b32 s9, v118, 62
	s_andn2_b64 s[8:9], s[8:9], exec
	s_and_b64 s[10:11], s[36:37], exec
	s_or_b64 s[8:9], s[8:9], s[10:11]
	v_writelane_b32 v118, s8, 61
	v_writelane_b32 v118, s9, 62
	v_readlane_b32 s8, v118, 63
	v_readlane_b32 s9, v124, 0
	s_andn2_b64 s[8:9], s[8:9], exec
	s_and_b64 s[10:11], s[34:35], exec
	s_or_b64 s[8:9], s[8:9], s[10:11]
	v_writelane_b32 v118, s8, 63
	v_writelane_b32 v124, s9, 0
	v_readlane_b32 s8, v124, 1
	v_readlane_b32 s9, v124, 2
	s_andn2_b64 s[8:9], s[8:9], exec
	s_and_b64 s[10:11], s[30:31], exec
	s_or_b64 s[8:9], s[8:9], s[10:11]
	v_writelane_b32 v124, s8, 1
	v_writelane_b32 v124, s9, 2
	v_readlane_b32 s8, v124, 3
	v_readlane_b32 s9, v124, 4
	s_andn2_b64 s[8:9], s[8:9], exec
	s_and_b64 s[10:11], s[28:29], exec
	s_or_b64 s[8:9], s[8:9], s[10:11]
	v_writelane_b32 v124, s8, 3
	v_writelane_b32 v124, s9, 4
	v_readlane_b32 s8, v124, 5
	v_readlane_b32 s9, v124, 6
	s_andn2_b64 s[8:9], s[8:9], exec
	s_and_b64 s[10:11], s[94:95], exec
	s_or_b64 s[8:9], s[8:9], s[10:11]
	v_writelane_b32 v124, s8, 5
	v_writelane_b32 v124, s9, 6
	v_readlane_b32 s8, v124, 7
	v_readlane_b32 s9, v124, 8
	s_andn2_b64 s[8:9], s[8:9], exec
	s_and_b64 s[10:11], s[92:93], exec
	s_or_b64 s[8:9], s[8:9], s[10:11]
	v_writelane_b32 v124, s8, 7
	v_writelane_b32 v124, s9, 8
	v_readlane_b32 s8, v124, 9
	v_readlane_b32 s9, v124, 10
	s_andn2_b64 s[8:9], s[8:9], exec
	s_and_b64 s[10:11], s[90:91], exec
	s_or_b64 s[8:9], s[8:9], s[10:11]
	v_writelane_b32 v124, s8, 9
	v_writelane_b32 v124, s9, 10
	v_readlane_b32 s8, v124, 11
	v_readlane_b32 s9, v124, 12
	s_andn2_b64 s[8:9], s[8:9], exec
	s_and_b64 s[10:11], s[88:89], exec
	s_or_b64 s[8:9], s[8:9], s[10:11]
	v_writelane_b32 v124, s8, 11
	v_writelane_b32 v124, s9, 12
	v_readlane_b32 s8, v124, 13
	v_readlane_b32 s9, v124, 14
	s_andn2_b64 s[8:9], s[8:9], exec
	s_and_b64 s[10:11], s[86:87], exec
	s_or_b64 s[8:9], s[8:9], s[10:11]
	v_writelane_b32 v124, s8, 13
	v_writelane_b32 v124, s9, 14
	v_readlane_b32 s8, v124, 15
	v_readlane_b32 s9, v124, 16
	s_andn2_b64 s[8:9], s[8:9], exec
	s_and_b64 s[10:11], s[84:85], exec
	s_or_b64 s[8:9], s[8:9], s[10:11]
	v_writelane_b32 v124, s8, 15
	v_writelane_b32 v124, s9, 16
	v_readlane_b32 s8, v124, 17
	v_readlane_b32 s9, v124, 18
	s_andn2_b64 s[8:9], s[8:9], exec
	s_and_b64 s[10:11], s[82:83], exec
	s_or_b64 s[8:9], s[8:9], s[10:11]
	v_writelane_b32 v124, s8, 17
	v_writelane_b32 v124, s9, 18
	v_readlane_b32 s8, v124, 19
	v_readlane_b32 s9, v124, 20
	s_andn2_b64 s[8:9], s[8:9], exec
	s_and_b64 s[10:11], s[80:81], exec
	s_or_b64 s[8:9], s[8:9], s[10:11]
	v_writelane_b32 v124, s8, 19
	v_writelane_b32 v124, s9, 20
	v_readlane_b32 s8, v124, 21
	v_readlane_b32 s9, v124, 22
	s_andn2_b64 s[8:9], s[8:9], exec
	s_and_b64 s[10:11], s[76:77], exec
	s_or_b64 s[8:9], s[8:9], s[10:11]
	v_writelane_b32 v124, s8, 21
	v_writelane_b32 v124, s9, 22
	v_readlane_b32 s8, v124, 23
	v_readlane_b32 s9, v124, 24
	s_andn2_b64 s[8:9], s[8:9], exec
	s_and_b64 s[10:11], s[74:75], exec
	s_or_b64 s[8:9], s[8:9], s[10:11]
	v_writelane_b32 v124, s8, 23
	v_writelane_b32 v124, s9, 24
	v_readlane_b32 s8, v124, 25
	v_readlane_b32 s9, v124, 26
	s_andn2_b64 s[8:9], s[8:9], exec
	s_and_b64 s[10:11], s[72:73], exec
	s_or_b64 s[8:9], s[8:9], s[10:11]
	v_writelane_b32 v124, s8, 25
	v_writelane_b32 v124, s9, 26
	v_readlane_b32 s8, v124, 27
	v_readlane_b32 s9, v124, 28
	s_andn2_b64 s[8:9], s[8:9], exec
	s_and_b64 s[10:11], s[70:71], exec
	s_or_b64 s[8:9], s[8:9], s[10:11]
	v_writelane_b32 v124, s8, 27
	v_writelane_b32 v124, s9, 28
	v_readlane_b32 s8, v124, 29
	v_readlane_b32 s9, v124, 30
	s_andn2_b64 s[8:9], s[8:9], exec
	s_and_b64 s[10:11], s[68:69], exec
	s_or_b64 s[8:9], s[8:9], s[10:11]
	v_writelane_b32 v124, s8, 29
	v_writelane_b32 v124, s9, 30
	v_readlane_b32 s8, v118, 5
	v_readlane_b32 s9, v118, 6
	s_andn2_b64 s[8:9], s[8:9], exec
	s_and_b64 s[10:11], s[56:57], exec
	s_or_b64 s[14:15], s[8:9], s[10:11]
	v_readlane_b32 s8, v124, 31
	v_readlane_b32 s9, v124, 32
	s_andn2_b64 s[8:9], s[8:9], exec
	s_and_b64 s[10:11], s[26:27], exec
	s_or_b64 s[8:9], s[8:9], s[10:11]
	v_writelane_b32 v124, s8, 31
	v_writelane_b32 v124, s9, 32
	v_readlane_b32 s8, v124, 33
	v_readlane_b32 s9, v124, 34
	s_andn2_b64 s[8:9], s[8:9], exec
	s_and_b64 s[10:11], s[24:25], exec
	s_or_b64 s[8:9], s[8:9], s[10:11]
	v_writelane_b32 v124, s8, 33
	v_writelane_b32 v124, s9, 34
	;; [unrolled: 7-line block ×4, first 2 shown]
	v_readlane_b32 s8, v118, 3
	v_readlane_b32 s9, v118, 4
	s_andn2_b64 s[8:9], s[8:9], exec
	s_and_b64 s[10:11], s[18:19], exec
	s_or_b64 s[10:11], s[8:9], s[10:11]
	v_readlane_b32 s8, v124, 39
	v_readlane_b32 s9, v124, 40
	s_andn2_b64 s[8:9], s[8:9], exec
	s_and_b64 s[4:5], s[4:5], exec
	s_or_b64 s[4:5], s[8:9], s[4:5]
	v_writelane_b32 v124, s4, 39
	v_writelane_b32 v124, s5, 40
	v_readlane_b32 s4, v118, 1
	v_readlane_b32 s5, v118, 2
	s_andn2_b64 s[4:5], s[4:5], exec
	s_and_b64 s[6:7], s[6:7], exec
	s_or_b64 s[8:9], s[4:5], s[6:7]
	s_andn2_b64 exec, exec, s[78:79]
	s_cbranch_execz .LBB7_120
.LBB7_98:                               ;   Parent Loop BB7_15 Depth=1
                                        ; =>  This Loop Header: Depth=2
                                        ;       Child Loop BB7_108 Depth 3
	v_lshl_add_u32 v1, v8, 3, v44
	buffer_load_dword v0, v1, s[0:3], 0 offen
	s_nop 0
	buffer_load_dword v1, v1, s[0:3], 0 offen offset:4
	v_writelane_b32 v118, s8, 1
	v_writelane_b32 v118, s9, 2
	;; [unrolled: 1-line block ×6, first 2 shown]
	s_andn2_b64 s[52:53], s[52:53], exec
	s_or_b64 s[50:51], s[50:51], exec
	s_andn2_b64 s[48:49], s[48:49], exec
	s_andn2_b64 s[46:47], s[46:47], exec
	;; [unrolled: 1-line block ×10, first 2 shown]
	s_or_b64 s[94:95], s[94:95], exec
	s_andn2_b64 s[92:93], s[92:93], exec
	s_andn2_b64 s[90:91], s[90:91], exec
	;; [unrolled: 1-line block ×18, first 2 shown]
	s_or_b64 s[16:17], s[16:17], exec
                                        ; implicit-def: $vgpr93
	s_waitcnt vmcnt(1)
	v_lshrrev_b32_e32 v2, 1, v0
	s_waitcnt vmcnt(0)
	v_cmp_gt_i32_e32 vcc, v2, v1
	s_and_saveexec_b64 s[54:55], vcc
	s_cbranch_execz .LBB7_97
; %bb.99:                               ;   in Loop: Header=BB7_98 Depth=2
	v_writelane_b32 v118, s94, 7
	v_writelane_b32 v118, s95, 8
	;; [unrolled: 1-line block ×41, first 2 shown]
	v_ashrrev_i32_e32 v10, 1, v1
	v_lshrrev_b32_e32 v9, 2, v0
	v_writelane_b32 v118, s13, 48
	v_max_i32_e32 v2, v9, v10
	s_mov_b64 s[4:5], -1
	s_mov_b64 s[6:7], 0
	s_mov_b64 s[58:59], 0
	;; [unrolled: 1-line block ×17, first 2 shown]
	s_mov_b64 s[92:93], -1
	s_mov_b64 s[94:95], 0
	s_mov_b64 s[96:97], 0
	;; [unrolled: 1-line block ×11, first 2 shown]
	s_mov_b64 s[24:25], -1
	s_mov_b64 s[26:27], 0
	v_cmp_lt_i32_e32 vcc, v2, v8
                                        ; implicit-def: $vgpr93
	s_mov_b64 s[56:57], exec
	v_writelane_b32 v118, s56, 49
	v_writelane_b32 v118, s57, 50
	s_and_b64 s[56:57], s[56:57], vcc
	s_mov_b64 exec, s[56:57]
	s_cbranch_execz .LBB7_96
; %bb.100:                              ;   in Loop: Header=BB7_98 Depth=2
	v_lshl_add_u32 v2, v10, 2, v106
	v_lshl_add_u32 v4, v9, 2, v106
	buffer_load_dword v3, v2, s[0:3], 0 offen
	s_nop 0
	buffer_load_dword v2, v4, s[0:3], 0 offen
	s_mov_b64 s[20:21], -1
	s_mov_b64 s[56:57], 0
	v_mov_b32_e32 v4, -1
	s_mov_b64 s[8:9], -1
	s_mov_b64 s[6:7], -1
                                        ; implicit-def: $sgpr10
	s_waitcnt vmcnt(1)
	v_cmp_ne_u32_e32 vcc, -1, v3
	s_waitcnt vmcnt(0)
	v_cmp_ne_u32_e64 s[4:5], -1, v2
	s_and_b64 s[12:13], vcc, s[4:5]
	s_mov_b64 s[4:5], 0
	s_and_saveexec_b64 s[22:23], s[12:13]
	s_cbranch_execz .LBB7_114
; %bb.101:                              ;   in Loop: Header=BB7_98 Depth=2
	v_and_b32_e32 v1, 1, v1
	v_bfe_u32 v0, v0, 1, 1
	v_lshl_or_b32 v3, v3, 1, v1
	v_lshl_or_b32 v0, v2, 1, v0
	v_min_i32_e32 v1, v3, v0
	v_max_i32_e32 v0, v3, v0
	v_lshrrev_b32_e32 v2, 1, v1
	v_xor_b32_e32 v2, v0, v2
	s_mov_b32 s4, 0xff51afd7
	s_mov_b32 s6, 0xed558ccd
	v_mul_lo_u32 v4, v2, s4
	v_mad_u64_u32 v[2:3], s[4:5], v2, s6, 0
	v_mul_lo_u32 v5, v1, s6
	v_add3_u32 v3, v3, v4, v5
	v_lshrrev_b32_e32 v4, 1, v3
	v_xor_b32_e32 v2, v4, v2
	s_mov_b32 s4, 0x1a85ec53
	s_mov_b32 s5, 0xc4ceb9fe
	v_mul_lo_u32 v4, v3, s4
	v_mul_lo_u32 v5, v2, s5
	v_mad_u64_u32 v[2:3], s[4:5], v2, s4, 0
	v_add3_u32 v5, v3, v5, v4
	v_readlane_b32 s4, v120, 10
	v_lshrrev_b32_e32 v3, 1, v5
	v_readlane_b32 s5, v120, 11
	v_xor_b32_e32 v4, v3, v2
	v_or_b32_e32 v3, s5, v5
	v_mov_b32_e32 v2, v77
	v_cmp_ne_u64_e32 vcc, 0, v[2:3]
                                        ; implicit-def: $vgpr2_vgpr3
	s_and_saveexec_b64 s[4:5], vcc
	s_xor_b64 s[8:9], exec, s[4:5]
	s_cbranch_execz .LBB7_103
; %bb.102:                              ;   in Loop: Header=BB7_98 Depth=2
	v_readlane_b32 s10, v120, 10
	v_readlane_b32 s11, v120, 11
	v_cvt_f32_u32_e32 v2, s10
	v_cvt_f32_u32_e32 v3, s11
	s_sub_u32 s4, 0, s10
	s_subb_u32 s5, 0, s11
	v_mac_f32_e32 v2, 0x4f800000, v3
	v_rcp_f32_e32 v2, v2
	v_mul_f32_e32 v2, 0x5f7ffffc, v2
	v_mul_f32_e32 v3, 0x2f800000, v2
	v_trunc_f32_e32 v3, v3
	v_mac_f32_e32 v2, 0xcf800000, v3
	v_cvt_u32_f32_e32 v3, v3
	v_cvt_u32_f32_e32 v2, v2
	v_mul_lo_u32 v11, s4, v3
	v_mul_hi_u32 v13, s4, v2
	v_mul_lo_u32 v12, s5, v2
	v_add_u32_e32 v11, v13, v11
	v_mul_lo_u32 v14, s4, v2
	v_add_u32_e32 v11, v11, v12
	v_mul_hi_u32 v13, v2, v14
	v_mul_lo_u32 v15, v2, v11
	v_mul_hi_u32 v12, v2, v11
	v_add_co_u32_e32 v13, vcc, v13, v15
	v_addc_co_u32_e32 v12, vcc, 0, v12, vcc
	v_mul_hi_u32 v16, v3, v14
	v_mul_lo_u32 v14, v3, v14
	v_add_co_u32_e32 v13, vcc, v13, v14
	v_mul_hi_u32 v15, v3, v11
	v_addc_co_u32_e32 v12, vcc, v12, v16, vcc
	v_addc_co_u32_e32 v13, vcc, 0, v15, vcc
	v_mul_lo_u32 v11, v3, v11
	v_add_co_u32_e32 v11, vcc, v12, v11
	v_addc_co_u32_e32 v12, vcc, 0, v13, vcc
	v_add_co_u32_e32 v2, vcc, v2, v11
	v_addc_co_u32_e32 v3, vcc, v3, v12, vcc
	v_mul_lo_u32 v11, s4, v3
	v_mul_hi_u32 v12, s4, v2
	v_add_u32_e32 v11, v12, v11
	v_mul_lo_u32 v12, s5, v2
	v_add_u32_e32 v11, v11, v12
	v_mul_lo_u32 v13, s4, v2
	v_mul_hi_u32 v14, v3, v13
	v_mul_lo_u32 v15, v3, v13
	v_mul_lo_u32 v17, v2, v11
	v_mul_hi_u32 v13, v2, v13
	v_mul_hi_u32 v16, v2, v11
	v_add_co_u32_e32 v13, vcc, v13, v17
	v_addc_co_u32_e32 v16, vcc, 0, v16, vcc
	v_add_co_u32_e32 v13, vcc, v13, v15
	v_mul_hi_u32 v12, v3, v11
	v_addc_co_u32_e32 v13, vcc, v16, v14, vcc
	v_addc_co_u32_e32 v12, vcc, 0, v12, vcc
	v_mul_lo_u32 v11, v3, v11
	v_add_co_u32_e32 v11, vcc, v13, v11
	v_addc_co_u32_e32 v12, vcc, 0, v12, vcc
	v_add_co_u32_e32 v11, vcc, v2, v11
	v_addc_co_u32_e32 v12, vcc, v3, v12, vcc
	v_mad_u64_u32 v[2:3], s[4:5], v4, v12, 0
	v_mul_hi_u32 v13, v4, v11
	v_add_co_u32_e32 v14, vcc, v13, v2
	v_addc_co_u32_e32 v15, vcc, 0, v3, vcc
	v_mad_u64_u32 v[2:3], s[4:5], v5, v12, 0
	v_mad_u64_u32 v[12:13], s[4:5], v5, v11, 0
	v_add_co_u32_e32 v11, vcc, v14, v12
	v_addc_co_u32_e32 v11, vcc, v15, v13, vcc
	v_addc_co_u32_e32 v3, vcc, 0, v3, vcc
	v_add_co_u32_e32 v2, vcc, v11, v2
	v_addc_co_u32_e32 v3, vcc, 0, v3, vcc
	v_mul_lo_u32 v11, s11, v2
	v_mul_lo_u32 v12, s10, v3
	v_mad_u64_u32 v[2:3], s[4:5], s10, v2, 0
	v_add3_u32 v3, v3, v12, v11
	v_sub_u32_e32 v11, v5, v3
	v_mov_b32_e32 v12, s11
	v_sub_co_u32_e32 v2, vcc, v4, v2
	v_subb_co_u32_e64 v4, s[4:5], v11, v12, vcc
	v_subrev_co_u32_e64 v11, s[4:5], s10, v2
	v_subbrev_co_u32_e64 v13, s[6:7], 0, v4, s[4:5]
	v_cmp_le_u32_e64 s[6:7], s11, v13
	v_cndmask_b32_e64 v14, 0, -1, s[6:7]
	v_cmp_le_u32_e64 s[6:7], s10, v11
	v_subb_co_u32_e64 v4, s[4:5], v4, v12, s[4:5]
	v_cndmask_b32_e64 v15, 0, -1, s[6:7]
	v_cmp_eq_u32_e64 s[6:7], s11, v13
	v_subrev_co_u32_e64 v12, s[4:5], s10, v11
	v_subb_co_u32_e32 v3, vcc, v5, v3, vcc
	v_cndmask_b32_e64 v14, v14, v15, s[6:7]
	v_subbrev_co_u32_e64 v4, s[4:5], 0, v4, s[4:5]
	v_cmp_le_u32_e32 vcc, s11, v3
	v_cmp_ne_u32_e64 s[4:5], 0, v14
	v_cndmask_b32_e64 v5, 0, -1, vcc
	v_cmp_le_u32_e32 vcc, s10, v2
	v_cndmask_b32_e64 v4, v13, v4, s[4:5]
	v_cndmask_b32_e64 v13, 0, -1, vcc
	v_cmp_eq_u32_e32 vcc, s11, v3
	v_cndmask_b32_e32 v5, v5, v13, vcc
	v_cmp_ne_u32_e32 vcc, 0, v5
	v_cndmask_b32_e32 v3, v3, v4, vcc
	v_cndmask_b32_e64 v4, v11, v12, s[4:5]
	v_cndmask_b32_e32 v2, v2, v4, vcc
                                        ; implicit-def: $vgpr4
.LBB7_103:                              ;   in Loop: Header=BB7_98 Depth=2
	s_andn2_saveexec_b64 s[4:5], s[8:9]
	s_cbranch_execz .LBB7_105
; %bb.104:                              ;   in Loop: Header=BB7_98 Depth=2
	v_readlane_b32 s8, v120, 10
	v_cvt_f32_u32_e32 v2, s8
	s_sub_i32 s6, 0, s8
	v_readlane_b32 s9, v120, 11
	v_rcp_iflag_f32_e32 v2, v2
	v_mul_f32_e32 v2, 0x4f7ffffe, v2
	v_cvt_u32_f32_e32 v2, v2
	v_mul_lo_u32 v3, s6, v2
	v_mul_hi_u32 v3, v2, v3
	v_add_u32_e32 v2, v2, v3
	v_mul_hi_u32 v2, v4, v2
	v_mul_lo_u32 v2, v2, s8
	v_sub_u32_e32 v2, v4, v2
	v_subrev_u32_e32 v3, s8, v2
	v_cmp_le_u32_e32 vcc, s8, v2
	v_cndmask_b32_e32 v2, v2, v3, vcc
	v_subrev_u32_e32 v3, s8, v2
	v_cmp_le_u32_e32 vcc, s8, v2
	v_cndmask_b32_e32 v76, v2, v3, vcc
	v_pk_mov_b32 v[2:3], v[76:77], v[76:77] op_sel:[0,1]
.LBB7_105:                              ;   in Loop: Header=BB7_98 Depth=2
	s_or_b64 exec, exec, s[4:5]
	v_readlane_b32 s4, v120, 6
	v_lshlrev_b64 v[4:5], 3, v[2:3]
	v_readlane_b32 s5, v120, 7
	v_mov_b32_e32 v11, s5
	v_add_co_u32_e32 v4, vcc, s4, v4
	v_addc_co_u32_e32 v5, vcc, v11, v5, vcc
	global_load_dwordx2 v[4:5], v[4:5], off
	v_readlane_b32 s6, v120, 8
	v_readlane_b32 s7, v120, 9
	s_mov_b64 s[6:7], -1
                                        ; implicit-def: $sgpr10
	s_waitcnt vmcnt(0)
	v_cmp_ne_u64_e32 vcc, v[4:5], v[0:1]
	s_and_saveexec_b64 s[4:5], vcc
	s_cbranch_execz .LBB7_111
; %bb.106:                              ;   in Loop: Header=BB7_98 Depth=2
	s_mov_b64 s[6:7], 0
                                        ; implicit-def: $sgpr8_sgpr9
                                        ; implicit-def: $sgpr12_sgpr13
                                        ; implicit-def: $sgpr10_sgpr11
	s_branch .LBB7_108
.LBB7_107:                              ;   in Loop: Header=BB7_108 Depth=3
	s_or_b64 exec, exec, s[14:15]
	s_xor_b64 s[14:15], s[10:11], -1
	s_and_b64 s[16:17], exec, s[12:13]
	s_or_b64 s[6:7], s[16:17], s[6:7]
	s_andn2_b64 s[8:9], s[8:9], exec
	s_and_b64 s[14:15], s[14:15], exec
	s_or_b64 s[8:9], s[8:9], s[14:15]
	s_andn2_b64 exec, exec, s[6:7]
	s_cbranch_execz .LBB7_110
.LBB7_108:                              ;   Parent Loop BB7_15 Depth=1
                                        ;     Parent Loop BB7_98 Depth=2
                                        ; =>    This Inner Loop Header: Depth=3
	v_cmp_ne_u64_e32 vcc, -1, v[4:5]
	s_or_b64 s[10:11], s[10:11], exec
	s_or_b64 s[12:13], s[12:13], exec
                                        ; implicit-def: $vgpr4_vgpr5
	s_and_saveexec_b64 s[14:15], vcc
	s_cbranch_execz .LBB7_107
; %bb.109:                              ;   in Loop: Header=BB7_108 Depth=3
	v_add_co_u32_e32 v2, vcc, 1, v2
	v_readlane_b32 s16, v120, 10
	v_addc_co_u32_e32 v3, vcc, 0, v3, vcc
	v_readlane_b32 s17, v120, 11
	v_cmp_ne_u64_e32 vcc, s[16:17], v[2:3]
	v_cndmask_b32_e32 v3, 0, v3, vcc
	v_cndmask_b32_e32 v2, 0, v2, vcc
	v_readlane_b32 s16, v120, 6
	v_lshlrev_b64 v[4:5], 3, v[2:3]
	v_readlane_b32 s17, v120, 7
	v_mov_b32_e32 v11, s17
	v_add_co_u32_e32 v4, vcc, s16, v4
	v_addc_co_u32_e32 v5, vcc, v11, v5, vcc
	global_load_dwordx2 v[4:5], v[4:5], off
	s_andn2_b64 s[12:13], s[12:13], exec
	s_andn2_b64 s[10:11], s[10:11], exec
	v_readlane_b32 s18, v120, 8
	v_readlane_b32 s19, v120, 9
	s_waitcnt vmcnt(0)
	v_cmp_eq_u64_e32 vcc, v[4:5], v[0:1]
	s_and_b64 s[16:17], vcc, exec
	s_or_b64 s[12:13], s[12:13], s[16:17]
	s_branch .LBB7_107
.LBB7_110:                              ;   in Loop: Header=BB7_98 Depth=2
	s_or_b64 exec, exec, s[6:7]
	s_mov_b32 s10, -1
	s_orn2_b64 s[6:7], s[8:9], exec
.LBB7_111:                              ;   in Loop: Header=BB7_98 Depth=2
	s_or_b64 exec, exec, s[4:5]
	v_mov_b32_e32 v4, s10
	s_and_saveexec_b64 s[4:5], s[6:7]
	s_cbranch_execz .LBB7_113
; %bb.112:                              ;   in Loop: Header=BB7_98 Depth=2
	v_readlane_b32 s8, v120, 6
	v_lshlrev_b64 v[0:1], 2, v[2:3]
	v_readlane_b32 s10, v120, 8
	v_readlane_b32 s11, v120, 9
	v_mov_b32_e32 v2, s11
	v_add_co_u32_e32 v0, vcc, s10, v0
	v_addc_co_u32_e32 v1, vcc, v2, v1, vcc
	global_load_dword v4, v[0:1], off
	v_readlane_b32 s9, v120, 7
.LBB7_113:                              ;   in Loop: Header=BB7_98 Depth=2
	s_or_b64 exec, exec, s[4:5]
	s_waitcnt vmcnt(0)
	v_cmp_ne_u32_e32 vcc, v4, v92
	s_mov_b64 s[4:5], exec
	s_mov_b32 s10, -1
	s_xor_b64 s[6:7], exec, -1
	s_orn2_b64 s[8:9], vcc, exec
.LBB7_114:                              ;   in Loop: Header=BB7_98 Depth=2
	s_or_b64 exec, exec, s[22:23]
	v_mov_b32_e32 v93, s10
	s_mov_b64 s[60:61], -1
	s_and_saveexec_b64 s[58:59], s[8:9]
	s_cbranch_execz .LBB7_95
; %bb.115:                              ;   in Loop: Header=BB7_98 Depth=2
	v_cmp_ne_u32_e64 s[14:15], -1, v4
	v_cmp_eq_u32_e32 vcc, -1, v4
	v_mov_b32_e32 v93, s10
	s_mov_b64 s[8:9], s[6:7]
	s_mov_b64 s[10:11], s[4:5]
	s_and_saveexec_b64 s[12:13], vcc
; %bb.116:                              ;   in Loop: Header=BB7_98 Depth=2
	v_cmp_lt_i32_e32 vcc, v7, v75
	v_add_u32_e32 v0, 1, v7
	s_andn2_b64 s[14:15], s[14:15], exec
	s_and_b64 s[16:17], vcc, exec
	v_mov_b32_e32 v93, -1
	s_or_b64 s[10:11], s[4:5], exec
	s_andn2_b64 s[8:9], s[6:7], exec
	s_or_b64 s[14:15], s[14:15], s[16:17]
	v_mov_b32_e32 v7, v0
; %bb.117:                              ;   in Loop: Header=BB7_98 Depth=2
	s_or_b64 exec, exec, s[12:13]
	s_mov_b64 s[16:17], -1
	s_and_saveexec_b64 s[12:13], s[14:15]
	s_cbranch_execz .LBB7_94
; %bb.118:                              ;   in Loop: Header=BB7_98 Depth=2
	v_lshl_add_u32 v0, v10, 2, v60
	v_lshl_add_u32 v1, v9, 2, v60
	buffer_load_dword v0, v0, s[0:3], 0 offen
	s_nop 0
	buffer_load_dword v1, v1, s[0:3], 0 offen
	s_mov_b32 s16, 0x3b9aca00
	v_lshl_add_u32 v2, v8, 2, v60
	s_mov_b64 s[14:15], -1
	s_waitcnt vmcnt(0)
	v_max_i32_e32 v0, v0, v1
	v_add_u32_e32 v1, 1, v0
	v_cmp_gt_i32_e32 vcc, s16, v0
	s_mov_b64 s[16:17], -1
	buffer_store_dword v1, v2, s[0:3], 0 offen
	s_and_saveexec_b64 s[18:19], vcc
	s_cbranch_execz .LBB7_93
; %bb.119:                              ;   in Loop: Header=BB7_98 Depth=2
	v_lshl_add_u32 v0, v8, 2, v106
	v_add_u32_e32 v8, 1, v8
	v_cmp_ge_i32_e32 vcc, v8, v6
	s_xor_b64 s[16:17], exec, -1
	s_orn2_b64 s[14:15], vcc, exec
	buffer_store_dword v4, v0, s[0:3], 0 offen
	s_branch .LBB7_93
.LBB7_120:                              ;   in Loop: Header=BB7_15 Depth=1
	s_mov_b64 s[68:69], s[12:13]
	s_or_b64 exec, exec, s[78:79]
	s_mov_b64 s[66:67], 0
	v_mov_b32_e32 v0, 0
	s_mov_b64 s[4:5], 0
	s_and_saveexec_b64 s[6:7], s[8:9]
	s_xor_b64 s[6:7], exec, s[6:7]
	s_cbranch_execz .LBB7_122
; %bb.121:                              ;   in Loop: Header=BB7_15 Depth=1
	v_readlane_b32 s8, v124, 39
	v_readlane_b32 s9, v124, 40
	s_mov_b64 s[4:5], exec
	s_and_b64 s[66:67], s[8:9], exec
	v_mov_b32_e32 v0, v7
.LBB7_122:                              ;   in Loop: Header=BB7_15 Depth=1
	s_or_b64 exec, exec, s[6:7]
	v_readlane_b32 s6, v124, 37
	v_readlane_b32 s7, v124, 38
	s_and_b64 s[62:63], s[6:7], exec
	v_readlane_b32 s6, v124, 35
	v_readlane_b32 s7, v124, 36
	s_and_b64 s[60:61], s[6:7], exec
	;; [unrolled: 3-line block ×17, first 2 shown]
	v_readlane_b32 s6, v122, 53
	v_readlane_b32 s8, v124, 3
	v_readlane_b32 s7, v122, 54
	v_readlane_b32 s9, v124, 4
	s_andn2_b64 s[6:7], s[6:7], exec
	s_and_b64 s[8:9], s[8:9], exec
	s_or_b64 s[24:25], s[6:7], s[8:9]
	v_readlane_b32 s6, v122, 51
	v_readlane_b32 s8, v124, 1
	v_readlane_b32 s7, v122, 52
	v_readlane_b32 s9, v124, 2
	s_andn2_b64 s[6:7], s[6:7], exec
	s_and_b64 s[8:9], s[8:9], exec
	s_or_b64 s[22:23], s[6:7], s[8:9]
	;; [unrolled: 7-line block ×4, first 2 shown]
	v_readlane_b32 s6, v118, 59
	v_readlane_b32 s7, v118, 60
	s_and_b64 s[16:17], s[6:7], exec
	v_readlane_b32 s6, v118, 57
	v_readlane_b32 s7, v118, 58
	s_and_b64 s[54:55], s[14:15], exec
	s_and_b64 s[14:15], s[6:7], exec
	v_readlane_b32 s6, v118, 55
	v_readlane_b32 s7, v118, 56
	s_and_b64 s[12:13], s[6:7], exec
	v_readlane_b32 s6, v118, 53
	v_readlane_b32 s7, v118, 54
	s_and_b64 s[64:65], s[10:11], exec
	s_and_b64 s[10:11], s[6:7], exec
	v_readlane_b32 s6, v118, 51
	v_readlane_b32 s7, v118, 52
	s_and_b64 s[8:9], s[6:7], exec
	s_and_b64 s[6:7], s[68:69], exec
	;; [unrolled: 1-line block ×3, first 2 shown]
	s_orn2_b64 s[66:67], s[66:67], exec
.LBB7_123:                              ;   in Loop: Header=BB7_15 Depth=1
	v_readlane_b32 s68, v123, 63
	v_readlane_b32 s69, v118, 0
	s_or_b64 exec, exec, s[68:69]
	s_and_saveexec_b64 s[68:69], s[66:67]
	s_cbranch_execz .LBB7_125
; %bb.124:                              ;   in Loop: Header=BB7_15 Depth=1
	v_lshlrev_b32_e32 v1, 2, v6
	v_add3_u32 v1, v1, v60, -4
	buffer_load_dword v110, v1, s[0:3], 0 offen
	s_or_b64 s[4:5], s[4:5], exec
	v_mov_b32_e32 v93, v0
.LBB7_125:                              ;   in Loop: Header=BB7_15 Depth=1
	s_or_b64 exec, exec, s[68:69]
	s_and_b64 s[64:65], s[64:65], exec
	v_writelane_b32 v123, s64, 25
	v_writelane_b32 v123, s65, 26
	s_and_b64 s[62:63], s[62:63], exec
	v_writelane_b32 v123, s62, 23
	v_writelane_b32 v123, s63, 24
	;; [unrolled: 3-line block ×5, first 2 shown]
	v_readlane_b32 s26, v122, 53
	v_readlane_b32 s27, v122, 54
	s_andn2_b64 s[26:27], s[26:27], exec
	s_and_b64 s[24:25], s[24:25], exec
	s_or_b64 s[24:25], s[26:27], s[24:25]
	v_writelane_b32 v123, s24, 15
	v_writelane_b32 v123, s25, 16
	v_readlane_b32 s24, v122, 51
	v_readlane_b32 s25, v122, 52
	s_andn2_b64 s[24:25], s[24:25], exec
	s_and_b64 s[22:23], s[22:23], exec
	s_or_b64 s[22:23], s[24:25], s[22:23]
	v_writelane_b32 v123, s22, 13
	v_writelane_b32 v123, s23, 14
	;; [unrolled: 7-line block ×3, first 2 shown]
	s_and_b64 s[16:17], s[16:17], exec
	v_writelane_b32 v123, s16, 9
	v_writelane_b32 v123, s17, 10
	s_and_b64 s[14:15], s[14:15], exec
	v_writelane_b32 v123, s14, 7
	v_writelane_b32 v123, s15, 8
	;; [unrolled: 3-line block ×3, first 2 shown]
	s_and_b64 s[10:11], s[10:11], exec
	v_writelane_b32 v123, s10, 3
	v_readlane_b32 s20, v122, 47
	v_writelane_b32 v123, s11, 4
	s_and_b64 s[6:7], s[6:7], exec
	v_readlane_b32 s21, v122, 48
	v_writelane_b32 v122, s6, 63
	v_writelane_b32 v123, s7, 0
	v_readlane_b32 s6, v123, 1
	v_readlane_b32 s7, v123, 2
	s_andn2_b64 s[6:7], s[6:7], exec
	s_and_b64 s[4:5], s[4:5], exec
	s_or_b64 s[4:5], s[6:7], s[4:5]
	s_andn2_b64 s[20:21], s[20:21], exec
	s_and_b64 s[18:19], s[18:19], exec
	v_writelane_b32 v123, s4, 1
	s_and_b64 s[56:57], s[56:57], exec
	s_and_b64 s[54:55], s[54:55], exec
	;; [unrolled: 1-line block ×14, first 2 shown]
	s_or_b64 s[18:19], s[20:21], s[18:19]
	s_and_b64 s[8:9], s[8:9], exec
	v_writelane_b32 v123, s5, 2
.LBB7_126:                              ;   in Loop: Header=BB7_15 Depth=1
	v_writelane_b32 v123, s56, 29
	v_writelane_b32 v123, s57, 30
	v_writelane_b32 v123, s54, 31
	v_writelane_b32 v123, s55, 32
	v_writelane_b32 v123, s52, 33
	v_writelane_b32 v123, s53, 34
	v_writelane_b32 v123, s50, 35
	v_writelane_b32 v123, s51, 36
	v_writelane_b32 v123, s48, 37
	v_writelane_b32 v123, s49, 38
	v_writelane_b32 v123, s46, 39
	v_writelane_b32 v123, s47, 40
	v_writelane_b32 v123, s44, 41
	v_writelane_b32 v123, s45, 42
	v_writelane_b32 v123, s42, 43
	v_writelane_b32 v123, s43, 44
	v_writelane_b32 v123, s40, 45
	v_writelane_b32 v123, s41, 46
	v_writelane_b32 v123, s38, 47
	v_writelane_b32 v123, s39, 48
	v_writelane_b32 v123, s36, 49
	v_writelane_b32 v123, s37, 50
	v_writelane_b32 v123, s34, 51
	v_writelane_b32 v123, s35, 52
	v_writelane_b32 v123, s30, 53
	v_writelane_b32 v123, s31, 54
	v_writelane_b32 v123, s28, 55
	v_writelane_b32 v123, s29, 56
	v_writelane_b32 v123, s18, 57
	v_writelane_b32 v123, s19, 58
	v_writelane_b32 v123, s8, 59
	v_writelane_b32 v123, s9, 60
	v_readlane_b32 s4, v123, 27
	v_readlane_b32 s5, v123, 28
	s_or_b64 exec, exec, s[4:5]
	s_mov_b64 s[4:5], -1
	s_mov_b64 s[6:7], exec
	v_writelane_b32 v123, s6, 61
	v_writelane_b32 v123, s7, 62
	v_readlane_b32 s8, v123, 1
	v_readlane_b32 s9, v123, 2
	s_and_b64 s[6:7], s[6:7], s[8:9]
	s_mov_b64 exec, s[6:7]
	s_cbranch_execz .LBB7_8
; %bb.127:                              ;   in Loop: Header=BB7_15 Depth=1
	v_cmp_lt_i32_e32 vcc, 0, v109
	s_and_saveexec_b64 s[4:5], vcc
	s_cbranch_execz .LBB7_135
; %bb.128:                              ;   in Loop: Header=BB7_15 Depth=1
	v_cmp_ne_u32_e32 vcc, 1, v109
	s_and_saveexec_b64 s[6:7], vcc
	s_xor_b64 s[6:7], exec, s[6:7]
	s_cbranch_execz .LBB7_132
; %bb.129:                              ;   in Loop: Header=BB7_15 Depth=1
	v_add_co_u32_e32 v1, vcc, -4, v72
	v_and_b32_e32 v0, 0x7ffffffe, v109
	v_addc_co_u32_e32 v2, vcc, -1, v73, vcc
	v_add_u32_e32 v76, -1, v109
	s_mov_b64 s[8:9], 0
.LBB7_130:                              ;   Parent Loop BB7_15 Depth=1
                                        ; =>  This Inner Loop Header: Depth=2
	v_lshlrev_b64 v[4:5], 2, v[76:77]
	v_add_co_u32_e32 v4, vcc, v1, v4
	v_addc_co_u32_e32 v5, vcc, v2, v5, vcc
	global_load_dwordx2 v[6:7], v[4:5], off
	v_add_u32_e32 v0, -2, v0
	v_cmp_eq_u32_e32 vcc, 0, v0
	v_add_u32_e32 v76, -2, v76
	s_or_b64 s[8:9], vcc, s[8:9]
	s_waitcnt vmcnt(0)
	v_not_b32_e32 v7, v7
	v_not_b32_e32 v6, v6
	global_store_dwordx2 v[4:5], v[6:7], off
	s_andn2_b64 exec, exec, s[8:9]
	s_cbranch_execnz .LBB7_130
; %bb.131:                              ;   in Loop: Header=BB7_15 Depth=1
	s_or_b64 exec, exec, s[8:9]
.LBB7_132:                              ;   in Loop: Header=BB7_15 Depth=1
	s_andn2_saveexec_b64 s[6:7], s[6:7]
	s_cbranch_execz .LBB7_135
; %bb.133:                              ;   in Loop: Header=BB7_15 Depth=1
	s_mov_b32 s6, 2
	v_pk_mov_b32 v[0:1], v[72:73], v[72:73] op_sel:[0,1]
.LBB7_134:                              ;   Parent Loop BB7_15 Depth=1
                                        ; =>  This Inner Loop Header: Depth=2
	global_load_dword v2, v[0:1], off
	s_add_i32 s6, s6, -1
	s_cmp_lt_u32 s6, 2
	s_waitcnt vmcnt(0)
	v_not_b32_e32 v2, v2
	global_store_dword v[0:1], v2, off
	v_add_co_u32_e32 v0, vcc, -4, v0
	v_addc_co_u32_e32 v1, vcc, 3, v1, vcc
	s_cbranch_scc0 .LBB7_134
.LBB7_135:                              ;   in Loop: Header=BB7_15 Depth=1
	s_or_b64 exec, exec, s[4:5]
	buffer_load_dword v0, v41, s[0:3], 0 offen offset:28
	s_mov_b64 s[4:5], -1
	s_mov_b64 s[6:7], 0
	s_mov_b64 s[8:9], 0
	;; [unrolled: 1-line block ×12, first 2 shown]
	s_mov_b64 s[30:31], -1
	s_mov_b64 s[34:35], 0
	s_mov_b64 s[36:37], 0
	s_mov_b64 s[38:39], 0
	s_mov_b64 s[40:41], 0
	s_mov_b64 s[42:43], 0
	s_mov_b64 s[44:45], 0
	s_mov_b64 s[46:47], 0
	s_mov_b64 s[48:49], 0
	s_mov_b64 s[50:51], 0
	s_mov_b64 s[52:53], 0
	s_mov_b64 s[54:55], 0
	s_mov_b64 s[56:57], 0
	s_mov_b64 s[58:59], 0
	s_mov_b64 s[60:61], 0
	s_mov_b64 s[62:63], 0
	s_mov_b64 s[64:65], 0
	s_waitcnt vmcnt(0)
	v_cmp_lt_i32_e32 vcc, -1, v0
	s_mov_b64 s[66:67], exec
	v_writelane_b32 v124, s66, 41
	v_writelane_b32 v124, s67, 42
	s_and_b64 s[66:67], s[66:67], vcc
	s_mov_b64 exec, s[66:67]
	s_cbranch_execz .LBB7_7
; %bb.136:                              ;   in Loop: Header=BB7_15 Depth=1
	v_readlane_b32 s4, v120, 0
	s_movk_i32 s6, 0x1030
	v_readlane_b32 s5, v120, 1
	s_add_u32 s8, s4, 0x80
	v_mov_b32_e32 v7, s6
	s_mov_b64 s[6:7], src_private_base
	s_addc_u32 s9, s5, 0
	v_mov_b32_e32 v0, v72
	v_mov_b32_e32 v1, v73
	;; [unrolled: 1-line block ×8, first 2 shown]
	buffer_store_dword v77, v41, s[0:3], 0 offen offset:28
	s_getpc_b64 s[4:5]
	s_add_u32 s4, s4, _ZN3sop13minatoIsopRecEPKjS1_iPNS_3SopEP7VecsMemIjLi8192EE@rel32@lo+4
	s_addc_u32 s5, s5, _ZN3sop13minatoIsopRecEPKjS1_iPNS_3SopEP7VecsMemIjLi8192EE@rel32@hi+12
	s_swappc_b64 s[30:31], s[4:5]
	v_readlane_b32 s33, v120, 44
	s_mov_b64 s[4:5], 0
	v_mov_b32_e32 v76, v109
                                        ; implicit-def: $sgpr96_sgpr97
                                        ; implicit-def: $sgpr94_sgpr95
                                        ; implicit-def: $sgpr62_sgpr63
                                        ; implicit-def: $sgpr8_sgpr9
                                        ; implicit-def: $sgpr6_sgpr7
	s_branch .LBB7_138
.LBB7_137:                              ;   in Loop: Header=BB7_138 Depth=2
	s_or_b64 exec, exec, s[10:11]
	s_and_b64 s[10:11], exec, s[8:9]
	s_or_b64 s[4:5], s[10:11], s[4:5]
	s_andn2_b64 s[10:11], s[62:63], exec
	s_and_b64 s[16:17], s[6:7], exec
	s_or_b64 s[62:63], s[10:11], s[16:17]
	s_andn2_b64 s[10:11], s[94:95], exec
	s_and_b64 s[14:15], s[14:15], exec
	;; [unrolled: 3-line block ×3, first 2 shown]
	s_or_b64 s[96:97], s[10:11], s[12:13]
	s_andn2_b64 exec, exec, s[4:5]
	s_cbranch_execz .LBB7_140
.LBB7_138:                              ;   Parent Loop BB7_15 Depth=1
                                        ; =>  This Inner Loop Header: Depth=2
	v_cmp_lt_i32_e32 vcc, 0, v76
	s_or_b64 s[6:7], s[6:7], exec
	s_or_b64 s[8:9], s[8:9], exec
                                        ; implicit-def: $sgpr14_sgpr15
                                        ; implicit-def: $sgpr12_sgpr13
	s_and_saveexec_b64 s[10:11], vcc
	s_cbranch_execz .LBB7_137
; %bb.139:                              ;   in Loop: Header=BB7_138 Depth=2
	v_add_u32_e32 v76, -1, v76
	v_lshlrev_b64 v[2:3], 2, v[76:77]
	v_add_co_u32_e32 v4, vcc, v72, v2
	v_addc_co_u32_e32 v5, vcc, v73, v3, vcc
	v_add_co_u32_e32 v2, vcc, v0, v2
	v_addc_co_u32_e32 v3, vcc, v1, v3, vcc
	global_load_dword v4, v[4:5], off
	s_andn2_b64 s[8:9], s[8:9], exec
	flat_load_dword v2, v[2:3]
	s_mov_b64 s[12:13], -1
	s_mov_b64 s[14:15], 0
	s_andn2_b64 s[6:7], s[6:7], exec
	s_waitcnt vmcnt(0) lgkmcnt(0)
	v_cmp_ne_u32_e32 vcc, v4, v2
	s_and_b64 s[16:17], vcc, exec
	s_or_b64 s[8:9], s[8:9], s[16:17]
	s_branch .LBB7_137
.LBB7_140:                              ;   in Loop: Header=BB7_15 Depth=1
	s_or_b64 exec, exec, s[4:5]
	s_mov_b64 s[4:5], -1
	s_mov_b64 s[6:7], s[94:95]
	s_mov_b64 s[8:9], s[94:95]
	;; [unrolled: 1-line block ×27, first 2 shown]
	s_and_saveexec_b64 s[64:65], s[62:63]
	s_xor_b64 s[64:65], exec, s[64:65]
	v_writelane_b32 v124, s64, 43
	v_writelane_b32 v124, s65, 44
	s_cbranch_execz .LBB7_6
; %bb.141:                              ;   in Loop: Header=BB7_15 Depth=1
	ds_read_b32 v6, v88 offset:4
	s_mov_b64 s[10:11], 0
	s_mov_b64 s[4:5], 0
	s_waitcnt lgkmcnt(0)
	v_cmp_lt_i32_e32 vcc, 0, v6
	s_and_saveexec_b64 s[6:7], vcc
	s_xor_b64 s[6:7], exec, s[6:7]
	s_cbranch_execz .LBB7_145
; %bb.142:                              ;   in Loop: Header=BB7_15 Depth=1
	v_cmp_eq_u32_e32 vcc, 1, v6
	s_mov_b64 s[8:9], -1
	s_and_saveexec_b64 s[12:13], vcc
	s_cbranch_execz .LBB7_144
; %bb.143:                              ;   in Loop: Header=BB7_15 Depth=1
	ds_read_b64 v[0:1], v88 offset:8
	s_waitcnt lgkmcnt(0)
	flat_load_dword v0, v[0:1]
	s_waitcnt vmcnt(0) lgkmcnt(0)
	v_cmp_eq_u32_e32 vcc, 0, v0
	v_cmp_ne_u32_e64 s[4:5], 0, v0
	s_and_b64 s[10:11], vcc, exec
	s_orn2_b64 s[8:9], s[4:5], exec
.LBB7_144:                              ;   in Loop: Header=BB7_15 Depth=1
	s_or_b64 exec, exec, s[12:13]
	s_and_b64 s[4:5], s[10:11], exec
	s_and_b64 s[10:11], s[8:9], exec
.LBB7_145:                              ;   in Loop: Header=BB7_15 Depth=1
	s_andn2_saveexec_b64 s[6:7], s[6:7]
; %bb.146:                              ;   in Loop: Header=BB7_15 Depth=1
	v_cmp_ne_u32_e32 vcc, 0, v6
	s_andn2_b64 s[8:9], s[10:11], exec
	s_and_b64 s[10:11], vcc, exec
	s_or_b64 s[4:5], s[4:5], exec
	s_or_b64 s[10:11], s[8:9], s[10:11]
; %bb.147:                              ;   in Loop: Header=BB7_15 Depth=1
	s_or_b64 exec, exec, s[6:7]
                                        ; implicit-def: $vgpr125 : SGPR spill to VGPR lane
	s_mov_b64 s[8:9], 0
	v_writelane_b32 v125, s94, 37
	v_writelane_b32 v125, s95, 38
	;; [unrolled: 1-line block ×58, first 2 shown]
	s_and_saveexec_b64 s[6:7], s[10:11]
	s_cbranch_execz .LBB7_162
; %bb.148:                              ;   in Loop: Header=BB7_15 Depth=1
	v_cmp_lt_i32_e32 vcc, 0, v6
	s_mov_b64 s[22:23], -1
	v_pk_mov_b32 v[0:1], 0, 0
	s_mov_b64 s[8:9], s[94:95]
	s_mov_b64 s[10:11], s[94:95]
	;; [unrolled: 1-line block ×3, first 2 shown]
	s_and_saveexec_b64 s[14:15], vcc
	s_cbranch_execz .LBB7_152
; %bb.149:                              ;   in Loop: Header=BB7_15 Depth=1
	buffer_load_dword v2, v41, s[0:3], 0 offen offset:28
	s_movk_i32 s8, 0x2001
	s_mov_b64 s[16:17], 0
	v_pk_mov_b32 v[0:1], 0, 0
	s_waitcnt vmcnt(0)
	v_add_u32_e32 v3, v2, v6
	v_cmp_gt_i32_e32 vcc, s8, v3
	s_and_saveexec_b64 s[8:9], vcc
	s_cbranch_execz .LBB7_151
; %bb.150:                              ;   in Loop: Header=BB7_15 Depth=1
	s_mov_b64 s[10:11], src_private_base
	s_mov_b64 s[16:17], exec
	v_lshl_add_u32 v0, v2, 2, v43
	v_mov_b32_e32 v1, s11
	buffer_store_dword v3, v41, s[0:3], 0 offen offset:28
.LBB7_151:                              ;   in Loop: Header=BB7_15 Depth=1
	s_or_b64 exec, exec, s[8:9]
	s_andn2_b64 s[12:13], s[96:97], exec
	s_or_b64 s[10:11], s[94:95], exec
	s_andn2_b64 s[8:9], s[94:95], exec
	s_orn2_b64 s[22:23], s[16:17], exec
.LBB7_152:                              ;   in Loop: Header=BB7_15 Depth=1
	s_or_b64 exec, exec, s[14:15]
	s_mov_b64 s[14:15], 0
	s_mov_b64 s[18:19], s[8:9]
	;; [unrolled: 1-line block ×3, first 2 shown]
	s_and_saveexec_b64 s[16:17], s[22:23]
	s_cbranch_execz .LBB7_161
; %bb.153:                              ;   in Loop: Header=BB7_15 Depth=1
	v_cmp_ne_u64_e32 vcc, 0, v[0:1]
	s_mov_b64 s[18:19], -1
	s_mov_b64 s[22:23], 0
	s_mov_b64 s[20:21], 0
	s_and_saveexec_b64 s[14:15], vcc
	s_cbranch_execz .LBB7_160
; %bb.154:                              ;   in Loop: Header=BB7_15 Depth=1
	v_cmp_lt_i32_e32 vcc, 0, v6
	s_and_saveexec_b64 s[18:19], vcc
	s_cbranch_execz .LBB7_159
; %bb.155:                              ;   in Loop: Header=BB7_15 Depth=1
	ds_read_b64 v[2:3], v88 offset:8
	v_pk_mov_b32 v[4:5], v[0:1], v[0:1] op_sel:[0,1]
	v_mov_b32_e32 v7, v6
.LBB7_156:                              ;   Parent Loop BB7_15 Depth=1
                                        ; =>  This Inner Loop Header: Depth=2
	s_waitcnt lgkmcnt(0)
	flat_load_dword v8, v[2:3]
	v_add_co_u32_e32 v2, vcc, 4, v2
	v_add_u32_e32 v7, -1, v7
	v_addc_co_u32_e32 v3, vcc, 0, v3, vcc
	v_cmp_eq_u32_e32 vcc, 0, v7
	s_or_b64 s[20:21], vcc, s[20:21]
	s_waitcnt vmcnt(0) lgkmcnt(0)
	flat_store_dword v[4:5], v8
	v_add_co_u32_e32 v4, vcc, 4, v4
	v_addc_co_u32_e32 v5, vcc, 0, v5, vcc
	s_andn2_b64 exec, exec, s[20:21]
	s_cbranch_execnz .LBB7_156
; %bb.157:                              ;   in Loop: Header=BB7_15 Depth=1
	s_or_b64 exec, exec, s[20:21]
	s_mov_b64 s[20:21], 0
	v_mov_b32_e32 v2, v6
	v_mov_b32_e32 v3, v43
.LBB7_158:                              ;   Parent Loop BB7_15 Depth=1
                                        ; =>  This Inner Loop Header: Depth=2
	flat_load_dword v4, v[0:1]
	v_add_co_u32_e32 v0, vcc, 4, v0
	v_add_u32_e32 v2, -1, v2
	v_addc_co_u32_e32 v1, vcc, 0, v1, vcc
	v_cmp_eq_u32_e32 vcc, 0, v2
	s_or_b64 s[20:21], vcc, s[20:21]
	s_waitcnt vmcnt(0) lgkmcnt(0)
	buffer_store_dword v4, v3, s[0:3], 0 offen
	v_add_u32_e32 v3, 4, v3
	s_andn2_b64 exec, exec, s[20:21]
	s_cbranch_execnz .LBB7_158
.LBB7_159:                              ;   in Loop: Header=BB7_15 Depth=1
	s_or_b64 exec, exec, s[18:19]
	buffer_load_dword v0, v41, s[0:3], 0 offen offset:28
	s_mov_b64 s[20:21], exec
	s_xor_b64 s[18:19], exec, -1
	s_waitcnt vmcnt(0)
	v_cmp_ge_i32_e32 vcc, v0, v6
	s_and_b64 s[22:23], vcc, exec
.LBB7_160:                              ;   in Loop: Header=BB7_15 Depth=1
	s_or_b64 exec, exec, s[14:15]
	s_andn2_b64 s[8:9], s[8:9], exec
	s_and_b64 s[14:15], s[20:21], exec
	s_or_b64 s[20:21], s[8:9], s[14:15]
	s_and_b64 s[14:15], s[18:19], exec
	s_andn2_b64 s[12:13], s[12:13], exec
	s_or_b64 s[18:19], s[8:9], s[14:15]
	s_andn2_b64 s[10:11], s[10:11], exec
	s_and_b64 s[14:15], s[22:23], exec
.LBB7_161:                              ;   in Loop: Header=BB7_15 Depth=1
	s_or_b64 exec, exec, s[16:17]
	s_andn2_b64 s[16:17], s[96:97], exec
	s_and_b64 s[12:13], s[12:13], exec
	s_or_b64 s[12:13], s[16:17], s[12:13]
	v_writelane_b32 v124, s12, 45
	v_writelane_b32 v124, s13, 46
	s_andn2_b64 s[12:13], s[94:95], exec
	s_and_b64 s[16:17], s[8:9], exec
	s_or_b64 s[16:17], s[12:13], s[16:17]
	v_writelane_b32 v124, s16, 47
	v_writelane_b32 v124, s17, 48
	s_and_b64 s[16:17], s[8:9], exec
	s_or_b64 s[16:17], s[12:13], s[16:17]
	v_writelane_b32 v124, s16, 49
	v_writelane_b32 v124, s17, 50
	;; [unrolled: 4-line block ×13, first 2 shown]
	s_and_b64 s[16:17], s[18:19], exec
	s_or_b64 s[16:17], s[12:13], s[16:17]
	v_writelane_b32 v125, s16, 9
	s_and_b64 s[10:11], s[10:11], exec
	v_writelane_b32 v125, s17, 10
	s_or_b64 s[10:11], s[12:13], s[10:11]
	v_writelane_b32 v125, s10, 11
	v_writelane_b32 v125, s11, 12
	s_and_b64 s[10:11], s[8:9], exec
	s_or_b64 s[10:11], s[12:13], s[10:11]
	v_writelane_b32 v125, s10, 13
	v_writelane_b32 v125, s11, 14
	s_and_b64 s[10:11], s[8:9], exec
	;; [unrolled: 4-line block ×12, first 2 shown]
	s_or_b64 s[10:11], s[12:13], s[10:11]
	v_writelane_b32 v125, s10, 35
	s_and_b64 s[8:9], s[8:9], exec
	v_writelane_b32 v125, s11, 36
	s_or_b64 s[8:9], s[12:13], s[8:9]
	v_writelane_b32 v125, s8, 37
	v_writelane_b32 v125, s9, 38
	s_and_b64 s[8:9], s[14:15], exec
	s_andn2_b64 s[4:5], s[4:5], exec
.LBB7_162:                              ;   in Loop: Header=BB7_15 Depth=1
	s_or_b64 exec, exec, s[6:7]
	s_and_saveexec_b64 s[6:7], s[4:5]
	s_cbranch_execz .LBB7_164
; %bb.163:                              ;   in Loop: Header=BB7_15 Depth=1
	v_readlane_b32 s4, v124, 45
	v_readlane_b32 s5, v124, 46
	s_andn2_b64 s[4:5], s[4:5], exec
	v_writelane_b32 v124, s4, 45
	v_writelane_b32 v124, s5, 46
	v_readlane_b32 s4, v124, 47
	v_readlane_b32 s5, v124, 48
	s_andn2_b64 s[4:5], s[4:5], exec
	v_writelane_b32 v124, s4, 47
	v_writelane_b32 v124, s5, 48
	;; [unrolled: 5-line block ×12, first 2 shown]
	v_readlane_b32 s4, v125, 5
	v_readlane_b32 s5, v125, 6
	s_or_b64 s[4:5], s[4:5], exec
	buffer_load_dword v0, v41, s[0:3], 0 offen offset:28
	v_writelane_b32 v125, s4, 5
	v_writelane_b32 v125, s5, 6
	v_readlane_b32 s4, v125, 7
	v_readlane_b32 s5, v125, 8
	s_andn2_b64 s[4:5], s[4:5], exec
	v_writelane_b32 v125, s4, 7
	v_writelane_b32 v125, s5, 8
	v_readlane_b32 s4, v125, 9
	v_readlane_b32 s5, v125, 10
	s_andn2_b64 s[4:5], s[4:5], exec
	;; [unrolled: 5-line block ×16, first 2 shown]
	v_writelane_b32 v125, s4, 37
	s_waitcnt vmcnt(0)
	v_cmp_ge_i32_e32 vcc, v0, v6
	v_writelane_b32 v125, s5, 38
	s_andn2_b64 s[4:5], s[8:9], exec
	s_and_b64 s[8:9], vcc, exec
	s_or_b64 s[8:9], s[4:5], s[8:9]
	buffer_store_dword v77, v41, s[0:3], 0 offen offset:32
.LBB7_164:                              ;   in Loop: Header=BB7_15 Depth=1
	s_or_b64 exec, exec, s[6:7]
	s_mov_b64 s[4:5], -1
	s_mov_b64 s[6:7], exec
	v_writelane_b32 v125, s6, 39
	v_writelane_b32 v125, s7, 40
	s_and_b64 s[6:7], s[6:7], s[8:9]
	s_mov_b64 exec, s[6:7]
	s_cbranch_execz .LBB7_5
; %bb.165:                              ;   in Loop: Header=BB7_15 Depth=1
	v_mov_b32_e32 v0, 0x9038
	v_cmp_lt_i32_e32 vcc, 0, v6
	s_mov_b64 s[78:79], 0
	s_mov_b64 s[4:5], 0
	;; [unrolled: 1-line block ×3, first 2 shown]
	buffer_store_dword v6, v41, s[0:3], 0 offen offset:28
	buffer_store_dword v40, v0, s[0:3], 0 offen offset:2056
                                        ; implicit-def: $vgpr8
	s_and_saveexec_b64 s[6:7], vcc
	s_xor_b64 s[6:7], exec, s[6:7]
	s_cbranch_execz .LBB7_171
; %bb.166:                              ;   in Loop: Header=BB7_15 Depth=1
	v_cmp_eq_u32_e32 vcc, 1, v6
	s_mov_b64 s[4:5], -1
	s_mov_b64 s[10:11], 0
	s_and_saveexec_b64 s[8:9], vcc
	s_cbranch_execz .LBB7_170
; %bb.167:                              ;   in Loop: Header=BB7_15 Depth=1
	buffer_load_dword v0, v41, s[0:3], 0 offen offset:32
	s_waitcnt vmcnt(0)
	v_cmp_ne_u32_e32 vcc, 0, v0
	v_cmp_eq_u32_e64 s[4:5], 0, v0
	s_and_saveexec_b64 s[12:13], s[4:5]
	s_xor_b64 s[4:5], exec, s[12:13]
	s_cbranch_execz .LBB7_169
; %bb.168:                              ;   in Loop: Header=BB7_15 Depth=1
	v_mov_b32_e32 v0, 0x9038
	s_mov_b64 s[10:11], exec
	buffer_store_dword v111, v0, s[0:3], 0 offen offset:2056
	v_lshl_add_u32 v0, v40, 3, v45
	buffer_store_dword v58, v0, s[0:3], 0 offen offset:4
	buffer_store_dword v59, v0, s[0:3], 0 offen
.LBB7_169:                              ;   in Loop: Header=BB7_15 Depth=1
	s_or_b64 exec, exec, s[4:5]
	s_and_b64 s[10:11], s[10:11], exec
	s_orn2_b64 s[4:5], vcc, exec
.LBB7_170:                              ;   in Loop: Header=BB7_15 Depth=1
	s_or_b64 exec, exec, s[8:9]
	s_and_b64 s[84:85], s[10:11], exec
	s_and_b64 s[4:5], s[4:5], exec
	v_mov_b32_e32 v8, v111
.LBB7_171:                              ;   in Loop: Header=BB7_15 Depth=1
	s_andn2_saveexec_b64 s[6:7], s[6:7]
; %bb.172:                              ;   in Loop: Header=BB7_15 Depth=1
	v_cmp_ne_u32_e32 vcc, 0, v6
	s_andn2_b64 s[4:5], s[4:5], exec
	s_and_b64 s[8:9], vcc, exec
	s_mov_b64 s[78:79], exec
	s_or_b64 s[4:5], s[4:5], s[8:9]
                                        ; implicit-def: $vgpr8
; %bb.173:                              ;   in Loop: Header=BB7_15 Depth=1
	s_or_b64 exec, exec, s[6:7]
	s_mov_b32 s6, 3
	s_mov_b32 s7, 1
	v_pk_mov_b32 v[2:3], s[6:7], s[6:7] op_sel:[0,1]
	v_readlane_b32 s6, v125, 37
	v_readlane_b32 s7, v125, 38
	v_writelane_b32 v125, s6, 41
	v_writelane_b32 v125, s7, 42
	v_readlane_b32 s6, v125, 35
	v_readlane_b32 s7, v125, 36
	v_writelane_b32 v125, s6, 43
	v_writelane_b32 v125, s7, 44
	;; [unrolled: 4-line block ×11, first 2 shown]
	v_readlane_b32 s6, v125, 15
	v_readlane_b32 s7, v125, 16
                                        ; implicit-def: $vgpr126 : SGPR spill to VGPR lane
	v_writelane_b32 v125, s6, 63
	v_writelane_b32 v126, s7, 0
	v_readlane_b32 s6, v125, 13
	v_readlane_b32 s7, v125, 14
	v_writelane_b32 v126, s6, 1
	v_writelane_b32 v126, s7, 2
	v_readlane_b32 s6, v125, 11
	v_readlane_b32 s7, v125, 12
	;; [unrolled: 4-line block ×17, first 2 shown]
	v_writelane_b32 v126, s6, 33
	v_writelane_b32 v126, s7, 34
	s_and_saveexec_b64 s[80:81], s[4:5]
                                        ; implicit-def: $vgpr127 : SGPR spill to VGPR lane
	s_cbranch_execz .LBB7_195
; %bb.174:                              ;   in Loop: Header=BB7_15 Depth=1
	v_readlane_b32 s10, v125, 37
	v_readlane_b32 s12, v125, 35
	v_readlane_b32 s16, v125, 33
	v_readlane_b32 s20, v125, 31
	v_readlane_b32 s22, v125, 29
	v_readlane_b32 s26, v125, 27
	v_readlane_b32 s30, v125, 25
	v_readlane_b32 s34, v125, 23
	v_readlane_b32 s38, v125, 21
	v_readlane_b32 s46, v125, 19
	v_readlane_b32 s50, v125, 17
	v_readlane_b32 s52, v125, 15
	v_readlane_b32 s54, v125, 13
	v_readlane_b32 s56, v125, 11
	v_readlane_b32 s58, v125, 9
	v_readlane_b32 s60, v125, 7
	v_readlane_b32 s64, v125, 5
	v_readlane_b32 s48, v125, 3
	v_readlane_b32 s66, v125, 1
	v_readlane_b32 s14, v124, 63
	v_readlane_b32 s18, v124, 61
	v_readlane_b32 s24, v124, 59
	v_readlane_b32 s28, v124, 57
	v_readlane_b32 s36, v124, 55
	v_readlane_b32 s40, v124, 53
	v_readlane_b32 s42, v124, 51
	v_readlane_b32 s44, v124, 49
	v_readlane_b32 s62, v124, 47
	v_readlane_b32 s68, v124, 45
	v_cmp_lt_i32_e32 vcc, 0, v6
	s_mov_b64 s[6:7], -1
	v_pk_mov_b32 v[0:1], 0, 0
	v_readlane_b32 s11, v125, 38
	v_readlane_b32 s13, v125, 36
	;; [unrolled: 1-line block ×29, first 2 shown]
	buffer_store_dword v77, v41, s[0:3], 0 offen
	s_and_saveexec_b64 s[4:5], vcc
	s_cbranch_execz .LBB7_178
; %bb.175:                              ;   in Loop: Header=BB7_15 Depth=1
	s_movk_i32 s6, 0x1001
	v_cmp_gt_u32_e32 vcc, s6, v6
	s_mov_b64 s[6:7], 0
	v_pk_mov_b32 v[0:1], 0, 0
	s_and_saveexec_b64 s[8:9], vcc
	s_cbranch_execz .LBB7_177
; %bb.176:                              ;   in Loop: Header=BB7_15 Depth=1
	v_lshlrev_b32_e32 v0, 1, v6
	buffer_store_dword v0, v41, s[0:3], 0 offen offset:28
	v_lshl_add_u32 v0, v6, 3, v42
	v_lshlrev_b32_e32 v1, 2, v6
	v_sub_u32_e32 v0, v0, v1
	s_mov_b64 s[10:11], src_private_base
	s_mov_b64 s[6:7], exec
	v_add_u32_e32 v0, 4, v0
	v_mov_b32_e32 v1, s11
.LBB7_177:                              ;   in Loop: Header=BB7_15 Depth=1
	s_or_b64 exec, exec, s[8:9]
	v_readlane_b32 s8, v124, 45
	v_readlane_b32 s9, v124, 46
	s_andn2_b64 s[68:69], s[8:9], exec
	v_readlane_b32 s8, v124, 47
	v_readlane_b32 s9, v124, 48
	s_andn2_b64 s[62:63], s[8:9], exec
	;; [unrolled: 3-line block ×11, first 2 shown]
	v_readlane_b32 s8, v125, 3
	v_readlane_b32 s9, v125, 4
	s_or_b64 s[48:49], s[8:9], exec
	v_readlane_b32 s8, v125, 5
	v_readlane_b32 s9, v125, 6
	s_andn2_b64 s[64:65], s[8:9], exec
	v_readlane_b32 s8, v125, 7
	v_readlane_b32 s9, v125, 8
	s_andn2_b64 s[60:61], s[8:9], exec
	;; [unrolled: 3-line block ×16, first 2 shown]
	v_readlane_b32 s8, v125, 37
	v_readlane_b32 s9, v125, 38
	s_orn2_b64 s[6:7], s[6:7], exec
	s_andn2_b64 s[10:11], s[8:9], exec
.LBB7_178:                              ;   in Loop: Header=BB7_15 Depth=1
	s_or_b64 exec, exec, s[4:5]
	s_mov_b64 s[4:5], s[84:85]
                                        ; implicit-def: $vgpr8
                                        ; implicit-def: $vgpr2_vgpr3
	s_and_saveexec_b64 s[8:9], s[6:7]
	s_cbranch_execz .LBB7_194
; %bb.179:                              ;   in Loop: Header=BB7_15 Depth=1
	v_writelane_b32 v126, s8, 35
	v_writelane_b32 v126, s9, 36
	v_cmp_lt_i32_e32 vcc, 0, v6
	buffer_store_dword v1, v41, s[0:3], 0 offen offset:8
	buffer_store_dword v0, v41, s[0:3], 0 offen offset:4
	s_and_saveexec_b64 s[4:5], vcc
	s_cbranch_execz .LBB7_183
; %bb.180:                              ;   in Loop: Header=BB7_15 Depth=1
	s_mov_b64 s[6:7], 0
	v_mov_b32_e32 v2, v6
	v_mov_b32_e32 v3, v43
.LBB7_181:                              ;   Parent Loop BB7_15 Depth=1
                                        ; =>  This Inner Loop Header: Depth=2
	buffer_load_dword v4, v3, s[0:3], 0 offen
	v_add_u32_e32 v2, -1, v2
	v_cmp_eq_u32_e32 vcc, 0, v2
	s_or_b64 s[6:7], vcc, s[6:7]
	v_add_u32_e32 v3, 4, v3
	s_waitcnt vmcnt(0)
	v_lshrrev_b32_e32 v5, 1, v4
	v_or_b32_e32 v5, v5, v4
	v_and_b32_e32 v5, 0x55555555, v5
	v_lshl_add_u32 v5, v5, 1, v5
	v_xor_b32_e32 v4, v5, v4
	flat_store_dword v[0:1], v4
	v_add_co_u32_e32 v0, vcc, 4, v0
	v_addc_co_u32_e32 v1, vcc, 0, v1, vcc
	s_andn2_b64 exec, exec, s[6:7]
	s_cbranch_execnz .LBB7_181
; %bb.182:                              ;   in Loop: Header=BB7_15 Depth=1
	s_or_b64 exec, exec, s[6:7]
	buffer_store_dword v6, v41, s[0:3], 0 offen
.LBB7_183:                              ;   in Loop: Header=BB7_15 Depth=1
	v_writelane_b32 v126, s68, 37
	v_writelane_b32 v126, s69, 38
	;; [unrolled: 1-line block ×62, first 2 shown]
	s_or_b64 exec, exec, s[4:5]
	s_movk_i32 s6, 0x1010
	v_mov_b32_e32 v0, s6
	v_readlane_b32 s6, v120, 16
	v_mov_b32_e32 v1, s6
	s_movk_i32 s6, 0x1030
	v_mov_b32_e32 v3, s6
	s_mov_b64 s[6:7], src_private_base
	v_readlane_b32 s4, v120, 0
	s_mov_b32 s6, 0x9840
	v_readlane_b32 s5, v120, 1
	s_add_u32 s8, s4, 0x80
	v_mov_b32_e32 v5, s6
	v_readlane_b32 s6, v120, 13
	v_lshlrev_b32_e32 v2, 1, v40
	s_addc_u32 s9, s5, 0
	v_mov_b32_e32 v4, s7
	v_mov_b32_e32 v6, s6
	s_mov_b64 s[98:99], s[84:85]
	s_getpc_b64 s[4:5]
	s_add_u32 s4, s4, _ZN3sop12sopFactorRecEPNS_3SopEiP7VecsMemIjLi8192EEPN8subgUtil4SubgILi256EEE@rel32@lo+4
	s_addc_u32 s5, s5, _ZN3sop12sopFactorRecEPNS_3SopEiP7VecsMemIjLi8192EEPN8subgUtil4SubgILi256EEE@rel32@hi+12
	s_swappc_b64 s[30:31], s[4:5]
	v_mov_b32_e32 v1, 0x9038
	buffer_load_dword v8, v1, s[0:3], 0 offen offset:2056
	v_readlane_b32 s82, v127, 29
	v_readlane_b32 s86, v127, 27
	;; [unrolled: 1-line block ×9, first 2 shown]
	v_ashrrev_i32_e32 v4, 1, v0
	v_readlane_b32 s83, v127, 30
	v_readlane_b32 s87, v127, 28
	;; [unrolled: 1-line block ×29, first 2 shown]
	v_cmp_ge_i32_e32 vcc, v4, v40
	s_mov_b64 s[84:85], s[98:99]
	s_mov_b64 s[4:5], s[98:99]
	;; [unrolled: 1-line block ×11, first 2 shown]
	v_readlane_b32 s47, v127, 8
	v_readlane_b32 s51, v127, 4
	;; [unrolled: 1-line block ×20, first 2 shown]
                                        ; implicit-def: $vgpr2_vgpr3
	s_and_saveexec_b64 s[66:67], vcc
	v_readlane_b32 s78, v127, 33
	v_readlane_b32 s80, v127, 31
	s_xor_b64 s[66:67], exec, s[66:67]
	v_readlane_b32 s79, v127, 34
	v_readlane_b32 s81, v127, 32
	s_cbranch_execz .LBB7_187
; %bb.184:                              ;   in Loop: Header=BB7_15 Depth=1
	s_waitcnt vmcnt(0)
	v_lshlrev_b32_e32 v0, 3, v8
	v_add3_u32 v0, v0, v45, -8
	buffer_load_dword v2, v0, s[0:3], 0 offen
	buffer_load_dword v3, v0, s[0:3], 0 offen offset:4
	s_waitcnt vmcnt(1)
	v_lshrrev_b32_e32 v1, 1, v2
	s_waitcnt vmcnt(0)
	v_cmp_lt_i64_e32 vcc, -1, v[2:3]
	v_cmp_ge_i32_e64 s[4:5], v1, v3
	s_and_b64 s[6:7], vcc, s[4:5]
	s_mov_b64 s[4:5], s[84:85]
	s_and_saveexec_b64 s[8:9], s[6:7]
	s_xor_b64 s[6:7], exec, s[8:9]
	s_cbranch_execz .LBB7_186
; %bb.185:                              ;   in Loop: Header=BB7_15 Depth=1
	v_xor_b32_e32 v2, 1, v2
	buffer_store_dword v3, v0, s[0:3], 0 offen offset:4
	buffer_store_dword v2, v0, s[0:3], 0 offen
	s_or_b64 s[4:5], s[84:85], exec
.LBB7_186:                              ;   in Loop: Header=BB7_15 Depth=1
	s_or_b64 exec, exec, s[6:7]
	v_readlane_b32 s6, v126, 37
	v_readlane_b32 s7, v126, 38
	s_andn2_b64 s[38:39], s[6:7], exec
	v_readlane_b32 s6, v126, 41
	v_readlane_b32 s7, v126, 42
	s_andn2_b64 s[34:35], s[6:7], exec
	v_readlane_b32 s6, v126, 45
	v_readlane_b32 s7, v126, 46
	s_andn2_b64 s[30:31], s[6:7], exec
	v_readlane_b32 s6, v126, 47
	v_readlane_b32 s7, v126, 48
	s_andn2_b64 s[26:27], s[6:7], exec
	v_readlane_b32 s6, v126, 51
	v_readlane_b32 s7, v126, 52
	s_andn2_b64 s[22:23], s[6:7], exec
	v_readlane_b32 s6, v126, 55
	v_readlane_b32 s7, v126, 56
	s_andn2_b64 s[20:21], s[6:7], exec
	v_readlane_b32 s6, v126, 59
	v_readlane_b32 s7, v126, 60
	s_andn2_b64 s[16:17], s[6:7], exec
	v_readlane_b32 s6, v126, 61
	v_readlane_b32 s7, v126, 62
	s_andn2_b64 s[10:11], s[6:7], exec
	v_readlane_b32 s6, v127, 1
	v_readlane_b32 s7, v127, 2
	s_andn2_b64 s[12:13], s[6:7], exec
	v_readlane_b32 s6, v127, 5
	v_readlane_b32 s7, v127, 6
	s_andn2_b64 s[8:9], s[6:7], exec
	s_andn2_b64 s[6:7], s[84:85], exec
	s_and_b64 s[4:5], s[4:5], exec
	s_or_b64 s[4:5], s[6:7], s[4:5]
	v_readlane_b32 s6, v127, 9
	v_readlane_b32 s7, v127, 10
	s_or_b64 s[48:49], s[6:7], exec
	v_readlane_b32 s6, v127, 11
	v_readlane_b32 s7, v127, 12
	s_andn2_b64 s[64:65], s[6:7], exec
	v_readlane_b32 s6, v126, 39
	v_readlane_b32 s7, v126, 40
	s_andn2_b64 s[62:63], s[6:7], exec
	;; [unrolled: 3-line block ×9, first 2 shown]
	s_andn2_b64 s[44:45], s[76:77], exec
	s_andn2_b64 s[42:43], s[74:75], exec
	;; [unrolled: 1-line block ×9, first 2 shown]
                                        ; implicit-def: $vgpr4
                                        ; implicit-def: $vgpr0
.LBB7_187:                              ;   in Loop: Header=BB7_15 Depth=1
	s_or_saveexec_b64 s[66:67], s[66:67]
	v_readlane_b32 s33, v120, 44
	s_xor_b64 exec, exec, s[66:67]
	s_cbranch_execz .LBB7_193
; %bb.188:                              ;   in Loop: Header=BB7_15 Depth=1
	s_waitcnt vmcnt(0)
	v_cmp_eq_u32_e32 vcc, v8, v40
	s_mov_b64 s[74:75], -1
	s_mov_b64 s[72:73], 0
	s_mov_b64 s[68:69], s[4:5]
                                        ; implicit-def: $vgpr2_vgpr3
	s_and_saveexec_b64 s[70:71], vcc
	s_cbranch_execz .LBB7_192
; %bb.189:                              ;   in Loop: Header=BB7_15 Depth=1
	v_ashrrev_i32_e32 v5, 31, v4
	v_lshlrev_b64 v[2:3], 2, v[4:5]
	v_add_co_u32_e32 v2, vcc, v104, v2
	v_addc_co_u32_e32 v3, vcc, v105, v3, vcc
	global_load_dword v1, v[2:3], off
	s_mov_b64 s[68:69], s[4:5]
                                        ; implicit-def: $vgpr2_vgpr3
	s_waitcnt vmcnt(0)
	v_lshlrev_b32_e32 v1, 1, v1
	v_cmp_lt_i32_e32 vcc, -1, v1
	s_and_saveexec_b64 s[72:73], vcc
	s_xor_b64 s[72:73], exec, s[72:73]
	s_cbranch_execz .LBB7_191
; %bb.190:                              ;   in Loop: Header=BB7_15 Depth=1
	v_not_b32_e32 v0, v0
	v_and_b32_e32 v0, 1, v0
	v_or_b32_e32 v3, v1, v0
	v_lshl_or_b32 v2, v3, 1, v0
	v_mov_b32_e32 v0, 0x9038
	buffer_store_dword v111, v0, s[0:3], 0 offen offset:2056
	v_lshl_add_u32 v0, v40, 3, v45
	buffer_store_dword v3, v0, s[0:3], 0 offen offset:4
	buffer_store_dword v2, v0, s[0:3], 0 offen
	s_or_b64 s[68:69], s[4:5], exec
.LBB7_191:                              ;   in Loop: Header=BB7_15 Depth=1
	s_or_b64 exec, exec, s[72:73]
	s_andn2_b64 s[76:77], s[4:5], exec
	s_and_b64 s[68:69], s[68:69], exec
	s_mov_b64 s[72:73], exec
	s_xor_b64 s[74:75], exec, -1
	s_or_b64 s[68:69], s[76:77], s[68:69]
.LBB7_192:                              ;   in Loop: Header=BB7_15 Depth=1
	s_or_b64 exec, exec, s[70:71]
	s_andn2_b64 s[12:13], s[12:13], exec
	s_and_b64 s[70:71], s[72:73], exec
	s_or_b64 s[12:13], s[12:13], s[70:71]
	s_andn2_b64 s[8:9], s[8:9], exec
	s_and_b64 s[70:71], s[74:75], exec
	s_or_b64 s[8:9], s[8:9], s[70:71]
	s_andn2_b64 s[4:5], s[4:5], exec
	s_and_b64 s[68:69], s[68:69], exec
	v_readlane_b32 s70, v127, 19
	v_readlane_b32 s72, v127, 17
	v_readlane_b32 s74, v127, 15
	v_readlane_b32 s76, v127, 13
	s_andn2_b64 s[38:39], s[38:39], exec
	s_andn2_b64 s[34:35], s[34:35], exec
	;; [unrolled: 1-line block ×27, first 2 shown]
	s_or_b64 s[4:5], s[4:5], s[68:69]
	v_mov_b32_e32 v8, v111
	v_readlane_b32 s71, v127, 20
	v_readlane_b32 s73, v127, 18
	;; [unrolled: 1-line block ×4, first 2 shown]
.LBB7_193:                              ;   in Loop: Header=BB7_15 Depth=1
	s_or_b64 exec, exec, s[66:67]
	v_readlane_b32 s66, v126, 37
	v_readlane_b32 s67, v126, 38
	s_andn2_b64 s[66:67], s[66:67], exec
	s_and_b64 s[38:39], s[38:39], exec
	s_or_b64 s[98:99], s[66:67], s[38:39]
	v_readlane_b32 s38, v126, 41
	v_readlane_b32 s39, v126, 42
	s_andn2_b64 s[38:39], s[38:39], exec
	s_and_b64 s[34:35], s[34:35], exec
	s_or_b64 s[68:69], s[38:39], s[34:35]
	;; [unrolled: 5-line block ×20, first 2 shown]
	s_andn2_b64 s[8:9], s[76:77], exec
	s_and_b64 s[10:11], s[44:45], exec
	s_mov_b64 s[44:45], s[38:39]
	s_or_b64 s[38:39], s[8:9], s[10:11]
	s_andn2_b64 s[8:9], s[74:75], exec
	s_and_b64 s[10:11], s[42:43], exec
	s_mov_b64 s[42:43], s[34:35]
	s_or_b64 s[34:35], s[8:9], s[10:11]
	s_andn2_b64 s[8:9], s[72:73], exec
	s_and_b64 s[10:11], s[40:41], exec
	s_mov_b64 s[40:41], s[30:31]
	s_or_b64 s[30:31], s[8:9], s[10:11]
	s_andn2_b64 s[8:9], s[70:71], exec
	s_and_b64 s[10:11], s[36:37], exec
	s_mov_b64 s[36:37], s[26:27]
	s_or_b64 s[26:27], s[8:9], s[10:11]
	s_andn2_b64 s[8:9], s[92:93], exec
	s_and_b64 s[10:11], s[28:29], exec
	s_mov_b64 s[28:29], s[22:23]
	s_or_b64 s[22:23], s[8:9], s[10:11]
	s_andn2_b64 s[8:9], s[90:91], exec
	s_and_b64 s[10:11], s[24:25], exec
	s_mov_b64 s[24:25], s[20:21]
	s_or_b64 s[20:21], s[8:9], s[10:11]
	s_andn2_b64 s[8:9], s[88:89], exec
	s_and_b64 s[10:11], s[18:19], exec
	s_mov_b64 s[18:19], s[16:17]
	s_or_b64 s[16:17], s[8:9], s[10:11]
	s_andn2_b64 s[8:9], s[86:87], exec
	s_and_b64 s[10:11], s[14:15], exec
	s_mov_b64 s[14:15], s[12:13]
	s_or_b64 s[12:13], s[8:9], s[10:11]
	s_andn2_b64 s[8:9], s[82:83], exec
	s_and_b64 s[6:7], s[6:7], exec
	s_or_b64 s[10:11], s[8:9], s[6:7]
	s_andn2_b64 s[6:7], s[84:85], exec
	s_and_b64 s[4:5], s[4:5], exec
	v_readlane_b32 s8, v126, 35
	s_mov_b64 s[62:63], s[68:69]
	s_mov_b64 s[68:69], s[98:99]
	s_or_b64 s[4:5], s[6:7], s[4:5]
	v_readlane_b32 s9, v126, 36
.LBB7_194:                              ;   in Loop: Header=BB7_15 Depth=1
	s_or_b64 exec, exec, s[8:9]
	v_readlane_b32 s8, v124, 45
	v_readlane_b32 s9, v124, 46
	s_and_b64 s[6:7], s[68:69], exec
	s_andn2_b64 s[8:9], s[8:9], exec
	s_or_b64 s[6:7], s[8:9], s[6:7]
	v_readlane_b32 s8, v124, 47
	v_writelane_b32 v126, s6, 33
	v_readlane_b32 s9, v124, 48
	v_writelane_b32 v126, s7, 34
	s_and_b64 s[6:7], s[62:63], exec
	s_andn2_b64 s[8:9], s[8:9], exec
	s_or_b64 s[6:7], s[8:9], s[6:7]
	v_readlane_b32 s8, v124, 49
	v_writelane_b32 v126, s6, 31
	v_readlane_b32 s9, v124, 50
	v_writelane_b32 v126, s7, 32
	;; [unrolled: 7-line block ×17, first 2 shown]
	s_and_b64 s[6:7], s[52:53], exec
	s_andn2_b64 s[8:9], s[8:9], exec
	s_or_b64 s[6:7], s[8:9], s[6:7]
	v_writelane_b32 v125, s6, 63
	v_readlane_b32 s8, v125, 17
	v_readlane_b32 s9, v125, 18
	v_writelane_b32 v126, s7, 0
	s_and_b64 s[6:7], s[50:51], exec
	s_andn2_b64 s[8:9], s[8:9], exec
	s_or_b64 s[6:7], s[8:9], s[6:7]
	v_writelane_b32 v125, s6, 61
	v_writelane_b32 v125, s7, 62
	v_readlane_b32 s8, v125, 19
	v_readlane_b32 s9, v125, 20
	s_and_b64 s[6:7], s[46:47], exec
	s_andn2_b64 s[8:9], s[8:9], exec
	s_or_b64 s[6:7], s[8:9], s[6:7]
	v_writelane_b32 v125, s6, 59
	v_writelane_b32 v125, s7, 60
	v_readlane_b32 s8, v125, 21
	v_readlane_b32 s9, v125, 22
	;; [unrolled: 7-line block ×10, first 2 shown]
	s_and_b64 s[6:7], s[10:11], exec
	s_andn2_b64 s[8:9], s[8:9], exec
	s_or_b64 s[6:7], s[8:9], s[6:7]
	v_writelane_b32 v125, s6, 41
	v_writelane_b32 v125, s7, 42
	s_andn2_b64 s[6:7], s[84:85], exec
	s_and_b64 s[4:5], s[4:5], exec
	s_or_b64 s[84:85], s[6:7], s[4:5]
	s_andn2_b64 s[78:79], s[78:79], exec
.LBB7_195:                              ;   in Loop: Header=BB7_15 Depth=1
	s_or_b64 exec, exec, s[80:81]
	s_and_saveexec_b64 s[4:5], s[78:79]
	s_cbranch_execz .LBB7_197
; %bb.196:                              ;   in Loop: Header=BB7_15 Depth=1
	v_mov_b32_e32 v0, 0x9038
	buffer_store_dword v111, v0, s[0:3], 0 offen offset:2056
	v_lshl_add_u32 v0, v40, 3, v45
	v_pk_mov_b32 v[2:3], 0, 0
	s_or_b64 s[84:85], s[84:85], exec
	s_waitcnt vmcnt(1)
	v_mov_b32_e32 v8, v111
	buffer_store_dword v77, v0, s[0:3], 0 offen offset:4
	buffer_store_dword v77, v0, s[0:3], 0 offen
.LBB7_197:                              ;   in Loop: Header=BB7_15 Depth=1
	s_or_b64 exec, exec, s[4:5]
	s_mov_b64 s[4:5], -1
	s_mov_b64 s[6:7], exec
	v_writelane_b32 v127, s6, 35
	v_writelane_b32 v127, s7, 36
	s_and_b64 s[6:7], s[6:7], s[84:85]
	s_mov_b64 exec, s[6:7]
	s_cbranch_execz .LBB7_4
; %bb.198:                              ;   in Loop: Header=BB7_15 Depth=1
	s_waitcnt vmcnt(0)
	v_cmp_ne_u32_e64 s[4:5], v8, v111
	v_cmp_eq_u32_e32 vcc, v8, v111
	s_mov_b64 s[70:71], 0
                                        ; implicit-def: $sgpr8
	s_and_saveexec_b64 s[6:7], vcc
	s_cbranch_execz .LBB7_200
; %bb.199:                              ;   in Loop: Header=BB7_15 Depth=1
	v_lshl_add_u32 v0, v40, 3, v45
	buffer_load_dword v1, v0, s[0:3], 0 offen
	s_nop 0
	buffer_load_dword v0, v0, s[0:3], 0 offen offset:4
	s_andn2_b64 s[4:5], s[4:5], exec
	s_mov_b64 s[70:71], exec
	s_mov_b32 s8, 0
	s_waitcnt vmcnt(1)
	v_lshrrev_b32_e32 v1, 1, v1
	s_waitcnt vmcnt(0)
	v_cmp_ne_u32_e32 vcc, v1, v0
	s_and_b64 s[10:11], vcc, exec
	s_or_b64 s[4:5], s[4:5], s[10:11]
.LBB7_200:                              ;   in Loop: Header=BB7_15 Depth=1
	s_or_b64 exec, exec, s[6:7]
	v_readlane_b32 s62, v125, 41
	v_readlane_b32 s60, v125, 43
	;; [unrolled: 1-line block ×29, first 2 shown]
	v_mov_b32_e32 v0, s8
	v_readlane_b32 s63, v125, 42
	v_readlane_b32 s61, v125, 44
	;; [unrolled: 1-line block ×29, first 2 shown]
	s_mov_b64 s[6:7], exec
	v_writelane_b32 v127, s6, 37
	v_writelane_b32 v127, s7, 38
	s_and_b64 s[4:5], s[6:7], s[4:5]
	s_mov_b32 s6, 0x281200
                                        ; implicit-def: $vgpr118 : SGPR spill to VGPR lane
	s_nop 1
	buffer_load_dword v20, off, s[0:3], s6  ; 4-byte Folded Reload
	s_mov_b64 exec, s[4:5]
	s_cbranch_execz .LBB7_244
; %bb.201:                              ;   in Loop: Header=BB7_15 Depth=1
	v_cmp_lt_i32_e32 vcc, 0, v40
	s_and_saveexec_b64 s[4:5], vcc
	s_cbranch_execz .LBB7_209
; %bb.202:                              ;   in Loop: Header=BB7_15 Depth=1
	v_cmp_ne_u32_e32 vcc, 1, v40
	s_mov_b64 s[8:9], -1
	v_mov_b32_e32 v76, 0
	s_and_saveexec_b64 s[6:7], vcc
	s_cbranch_execz .LBB7_206
; %bb.203:                              ;   in Loop: Header=BB7_15 Depth=1
	v_and_b32_e32 v76, 0x7ffffffe, v40
	v_readlane_b32 s12, v120, 36
	v_mov_b32_e32 v0, 16
	v_mov_b32_e32 v1, 0x410
	s_mov_b64 s[8:9], 0
	v_mov_b32_e32 v4, v76
	v_readlane_b32 s13, v120, 37
	v_readlane_b32 s14, v120, 38
	;; [unrolled: 1-line block ×7, first 2 shown]
.LBB7_204:                              ;   Parent Loop BB7_15 Depth=1
                                        ; =>  This Inner Loop Header: Depth=2
	global_load_dwordx2 v[6:7], v[104:105], off
	v_mov_b32_e32 v5, s13
	v_add_u32_e32 v4, -2, v4
	s_waitcnt vmcnt(0)
	buffer_store_dword v7, v0, s[0:3], 0 offen offset:4
	v_ashrrev_i32_e32 v11, 31, v7
	v_mov_b32_e32 v10, v7
	v_ashrrev_i32_e32 v7, 31, v6
	v_lshlrev_b64 v[12:13], 2, v[6:7]
	v_add_co_u32_e32 v12, vcc, s12, v12
	v_lshlrev_b64 v[10:11], 2, v[10:11]
	v_addc_co_u32_e32 v13, vcc, v5, v13, vcc
	v_add_co_u32_e32 v10, vcc, s12, v10
	v_addc_co_u32_e32 v11, vcc, v5, v11, vcc
	global_load_dword v5, v[10:11], off
	global_load_dword v7, v[12:13], off
	v_add_co_u32_e32 v104, vcc, 8, v104
	v_addc_co_u32_e32 v105, vcc, 0, v105, vcc
	v_cmp_eq_u32_e32 vcc, 0, v4
	s_or_b64 s[8:9], vcc, s[8:9]
	buffer_store_dword v6, v0, s[0:3], 0 offen
	v_add_u32_e32 v0, 8, v0
	s_waitcnt vmcnt(2)
	buffer_store_dword v5, v1, s[0:3], 0 offen offset:4
	s_waitcnt vmcnt(2)
	buffer_store_dword v7, v1, s[0:3], 0 offen
	v_add_u32_e32 v1, 8, v1
	s_andn2_b64 exec, exec, s[8:9]
	s_cbranch_execnz .LBB7_204
; %bb.205:                              ;   in Loop: Header=BB7_15 Depth=1
	s_or_b64 exec, exec, s[8:9]
	v_cmp_ne_u32_e32 vcc, v40, v76
	s_orn2_b64 s[8:9], vcc, exec
.LBB7_206:                              ;   in Loop: Header=BB7_15 Depth=1
	s_or_b64 exec, exec, s[6:7]
	v_readlane_b32 s16, v120, 36
	s_and_b64 s[6:7], exec, s[8:9]
	v_readlane_b32 s17, v120, 37
	v_readlane_b32 s18, v120, 38
	;; [unrolled: 1-line block ×7, first 2 shown]
	s_mov_b64 exec, s[6:7]
	s_cbranch_execz .LBB7_209
; %bb.207:                              ;   in Loop: Header=BB7_15 Depth=1
	v_lshlrev_b32_e32 v0, 2, v76
	v_add_u32_e32 v5, 0x410, v0
	v_add_u32_e32 v6, 16, v0
	v_lshlrev_b64 v[0:1], 2, v[76:77]
	v_add_co_u32_e32 v0, vcc, v94, v0
	v_readlane_b32 s8, v120, 26
	v_addc_co_u32_e32 v1, vcc, v95, v1, vcc
	v_readlane_b32 s10, v120, 28
	v_readlane_b32 s11, v120, 29
	v_mov_b32_e32 v7, s11
	v_add_co_u32_e32 v0, vcc, s10, v0
	v_sub_u32_e32 v4, v40, v76
	v_addc_co_u32_e32 v1, vcc, v7, v1, vcc
	s_mov_b64 s[6:7], 0
	v_readlane_b32 s9, v120, 27
	v_readlane_b32 s12, v120, 30
	;; [unrolled: 1-line block ×5, first 2 shown]
.LBB7_208:                              ;   Parent Loop BB7_15 Depth=1
                                        ; =>  This Inner Loop Header: Depth=2
	global_load_dword v10, v[0:1], off
	v_mov_b32_e32 v7, s17
	v_add_u32_e32 v4, -1, v4
	s_waitcnt vmcnt(0)
	v_ashrrev_i32_e32 v11, 31, v10
	v_lshlrev_b64 v[12:13], 2, v[10:11]
	v_add_co_u32_e32 v12, vcc, s16, v12
	v_addc_co_u32_e32 v13, vcc, v7, v13, vcc
	global_load_dword v7, v[12:13], off
	v_add_co_u32_e32 v0, vcc, 4, v0
	v_addc_co_u32_e32 v1, vcc, 0, v1, vcc
	v_cmp_eq_u32_e32 vcc, 0, v4
	s_or_b64 s[6:7], vcc, s[6:7]
	buffer_store_dword v10, v6, s[0:3], 0 offen
	v_add_u32_e32 v6, 4, v6
	s_waitcnt vmcnt(1)
	buffer_store_dword v7, v5, s[0:3], 0 offen
	v_add_u32_e32 v5, 4, v5
	s_andn2_b64 exec, exec, s[6:7]
	s_cbranch_execnz .LBB7_208
.LBB7_209:                              ;   in Loop: Header=BB7_15 Depth=1
	s_or_b64 exec, exec, s[4:5]
	v_readlane_b32 s6, v125, 41
	v_readlane_b32 s8, v125, 43
	;; [unrolled: 1-line block ×29, first 2 shown]
	v_cmp_gt_i32_e32 vcc, v8, v40
	s_mov_b64 s[66:67], -1
	s_mov_b64 s[4:5], 0
	v_mov_b32_e32 v1, 0
	v_readlane_b32 s7, v125, 42
	v_readlane_b32 s9, v125, 44
	;; [unrolled: 1-line block ×29, first 2 shown]
                                        ; implicit-def: $vgpr0
	s_and_saveexec_b64 s[72:73], vcc
	s_cbranch_execz .LBB7_241
; %bb.210:                              ;   in Loop: Header=BB7_15 Depth=1
                                        ; implicit-def: $sgpr4_sgpr5
                                        ; kill: killed $sgpr4_sgpr5
	v_writelane_b32 v127, s72, 41
                                        ; implicit-def: $sgpr4_sgpr5
                                        ; kill: killed $sgpr4_sgpr5
	v_writelane_b32 v127, s73, 42
	;; [unrolled: 3-line block ×4, first 2 shown]
                                        ; implicit-def: $sgpr4_sgpr5
                                        ; kill: killed $sgpr4_sgpr5
	s_mov_b64 s[12:13], 0
                                        ; implicit-def: $sgpr4_sgpr5
                                        ; kill: killed $sgpr4_sgpr5
	v_mov_b32_e32 v9, 0
                                        ; implicit-def: $sgpr4_sgpr5
                                        ; kill: killed $sgpr4_sgpr5
	v_mov_b32_e32 v10, v40
                                        ; implicit-def: $sgpr4_sgpr5
                                        ; kill: killed $sgpr4_sgpr5
                                        ; implicit-def: $sgpr8_sgpr9
                                        ; implicit-def: $sgpr10_sgpr11
                                        ; implicit-def: $sgpr70_sgpr71
                                        ; implicit-def: $sgpr68_sgpr69
                                        ; implicit-def: $sgpr14_sgpr15
                                        ; implicit-def: $sgpr16_sgpr17
                                        ; implicit-def: $sgpr18_sgpr19
                                        ; implicit-def: $sgpr20_sgpr21
                                        ; implicit-def: $sgpr22_sgpr23
                                        ; implicit-def: $sgpr24_sgpr25
                                        ; implicit-def: $sgpr26_sgpr27
                                        ; implicit-def: $sgpr28_sgpr29
                                        ; implicit-def: $sgpr30_sgpr31
                                        ; implicit-def: $sgpr34_sgpr35
                                        ; implicit-def: $sgpr36_sgpr37
                                        ; implicit-def: $sgpr38_sgpr39
                                        ; implicit-def: $sgpr40_sgpr41
                                        ; implicit-def: $sgpr42_sgpr43
                                        ; implicit-def: $sgpr44_sgpr45
                                        ; implicit-def: $sgpr46_sgpr47
                                        ; implicit-def: $sgpr48_sgpr49
                                        ; implicit-def: $sgpr50_sgpr51
                                        ; implicit-def: $sgpr52_sgpr53
                                        ; implicit-def: $sgpr72_sgpr73
                                        ; implicit-def: $sgpr82_sgpr83
                                        ; implicit-def: $sgpr54_sgpr55
                                        ; implicit-def: $sgpr56_sgpr57
                                        ; implicit-def: $sgpr58_sgpr59
                                        ; implicit-def: $sgpr60_sgpr61
                                        ; implicit-def: $sgpr62_sgpr63
                                        ; implicit-def: $sgpr64_sgpr65
                                        ; implicit-def: $sgpr66_sgpr67
                                        ; implicit-def: $sgpr74_sgpr75
                                        ; implicit-def: $sgpr76_sgpr77
                                        ; implicit-def: $sgpr78_sgpr79
                                        ; implicit-def: $sgpr80_sgpr81
                                        ; implicit-def: $sgpr4_sgpr5
                                        ; kill: killed $sgpr4_sgpr5
                                        ; implicit-def: $sgpr4_sgpr5
                                        ; kill: killed $sgpr4_sgpr5
	;; [unrolled: 2-line block ×19, first 2 shown]
	s_branch .LBB7_216
.LBB7_211:                              ;   in Loop: Header=BB7_216 Depth=2
	s_or_b64 exec, exec, s[22:23]
	s_andn2_b64 s[14:15], s[14:15], exec
	s_and_b64 s[20:21], s[20:21], exec
	v_mov_b32_e32 v0, -1
	s_or_b64 s[14:15], s[14:15], s[20:21]
	s_andn2_b64 s[10:11], s[10:11], exec
	s_orn2_b64 s[20:21], s[18:19], exec
.LBB7_212:                              ;   in Loop: Header=BB7_216 Depth=2
	s_or_b64 exec, exec, s[16:17]
	s_andn2_b64 s[4:5], s[4:5], exec
	s_and_b64 s[14:15], s[14:15], exec
	s_andn2_b64 s[6:7], s[6:7], exec
	s_and_b64 s[10:11], s[10:11], exec
	s_or_b64 s[4:5], s[4:5], s[14:15]
	s_or_b64 s[6:7], s[6:7], s[10:11]
	s_orn2_b64 s[56:57], s[20:21], exec
.LBB7_213:                              ;   in Loop: Header=BB7_216 Depth=2
	s_or_b64 exec, exec, s[8:9]
	s_and_b64 s[52:53], s[4:5], exec
	s_orn2_b64 s[50:51], s[6:7], exec
	s_and_b64 s[48:49], s[82:83], exec
	s_and_b64 s[46:47], s[82:83], exec
	;; [unrolled: 1-line block ×22, first 2 shown]
	s_orn2_b64 s[28:29], s[28:29], exec
	s_and_b64 s[92:93], s[82:83], exec
	s_and_b64 s[90:91], s[82:83], exec
	;; [unrolled: 1-line block ×6, first 2 shown]
	s_orn2_b64 s[4:5], s[56:57], exec
.LBB7_214:                              ;   in Loop: Header=BB7_216 Depth=2
	s_or_b64 exec, exec, s[54:55]
	v_readlane_b32 s54, v127, 53
	v_readlane_b32 s55, v127, 54
	s_andn2_b64 s[78:79], s[54:55], exec
	s_and_b64 s[52:53], s[52:53], exec
	s_or_b64 s[80:81], s[78:79], s[52:53]
	v_readlane_b32 s52, v127, 55
	v_readlane_b32 s53, v127, 56
	s_andn2_b64 s[52:53], s[52:53], exec
	s_and_b64 s[50:51], s[50:51], exec
	s_or_b64 s[78:79], s[52:53], s[50:51]
	;; [unrolled: 5-line block ×31, first 2 shown]
	v_readlane_b32 s6, v119, 51
	v_readlane_b32 s7, v119, 52
	s_andn2_b64 s[6:7], s[6:7], exec
	s_and_b64 s[4:5], s[4:5], exec
	v_readlane_b32 s68, v119, 53
	s_or_b64 s[14:15], s[6:7], s[4:5]
	v_readlane_b32 s69, v119, 54
.LBB7_215:                              ;   in Loop: Header=BB7_216 Depth=2
	v_readlane_b32 s4, v127, 51
	v_readlane_b32 s5, v127, 52
	s_or_b64 exec, exec, s[4:5]
	s_xor_b64 s[4:5], s[80:81], -1
	s_xor_b64 s[6:7], s[78:79], -1
	s_and_b64 s[8:9], exec, s[14:15]
	s_or_b64 s[12:13], s[8:9], s[12:13]
	s_andn2_b64 s[8:9], s[68:69], exec
	s_and_b64 s[10:11], s[76:77], exec
	s_or_b64 s[68:69], s[8:9], s[10:11]
	v_readlane_b32 s8, v127, 49
	v_readlane_b32 s9, v127, 50
	s_andn2_b64 s[8:9], s[8:9], exec
	s_and_b64 s[10:11], s[74:75], exec
	s_or_b64 s[70:71], s[8:9], s[10:11]
	v_readlane_b32 s8, v119, 55
	v_readlane_b32 s9, v119, 56
	s_andn2_b64 s[8:9], s[8:9], exec
	s_and_b64 s[10:11], s[66:67], exec
	s_or_b64 s[8:9], s[8:9], s[10:11]
	v_writelane_b32 v119, s8, 55
	v_writelane_b32 v119, s9, 56
	v_readlane_b32 s8, v119, 57
	v_readlane_b32 s9, v119, 58
	s_andn2_b64 s[8:9], s[8:9], exec
	s_and_b64 s[10:11], s[64:65], exec
	s_or_b64 s[8:9], s[8:9], s[10:11]
	v_writelane_b32 v119, s8, 57
	v_writelane_b32 v119, s9, 58
	;; [unrolled: 7-line block ×26, first 2 shown]
	v_readlane_b32 s8, v127, 47
	v_readlane_b32 s9, v127, 48
	s_andn2_b64 s[8:9], s[8:9], exec
	s_and_b64 s[10:11], s[16:17], exec
	s_or_b64 s[10:11], s[8:9], s[10:11]
	v_readlane_b32 s8, v118, 43
	v_readlane_b32 s9, v118, 44
	s_andn2_b64 s[8:9], s[8:9], exec
	s_and_b64 s[4:5], s[4:5], exec
	s_or_b64 s[4:5], s[8:9], s[4:5]
	v_writelane_b32 v118, s4, 43
	v_writelane_b32 v118, s5, 44
	v_readlane_b32 s4, v127, 45
	v_readlane_b32 s5, v127, 46
	s_andn2_b64 s[4:5], s[4:5], exec
	s_and_b64 s[6:7], s[6:7], exec
	s_or_b64 s[8:9], s[4:5], s[6:7]
	s_andn2_b64 exec, exec, s[12:13]
	s_cbranch_execz .LBB7_238
.LBB7_216:                              ;   Parent Loop BB7_15 Depth=1
                                        ; =>  This Loop Header: Depth=2
                                        ;       Child Loop BB7_226 Depth 3
	v_lshl_add_u32 v0, v10, 3, v45
	buffer_load_dword v1, v0, s[0:3], 0 offen
	buffer_load_dword v4, v0, s[0:3], 0 offen offset:4
	v_writelane_b32 v127, s8, 45
	v_writelane_b32 v127, s9, 46
	;; [unrolled: 1-line block ×6, first 2 shown]
	s_andn2_b64 s[80:81], s[80:81], exec
	s_or_b64 s[78:79], s[78:79], exec
	s_andn2_b64 s[76:77], s[76:77], exec
	s_andn2_b64 s[74:75], s[74:75], exec
	;; [unrolled: 1-line block ×21, first 2 shown]
	s_or_b64 s[30:31], s[30:31], exec
	s_andn2_b64 s[28:29], s[28:29], exec
	s_andn2_b64 s[26:27], s[26:27], exec
	;; [unrolled: 1-line block ×7, first 2 shown]
	s_or_b64 s[14:15], s[14:15], exec
	s_waitcnt vmcnt(1)
	v_lshrrev_b32_e32 v0, 1, v1
	s_waitcnt vmcnt(0)
	v_cmp_gt_i32_e32 vcc, v0, v4
                                        ; implicit-def: $vgpr0
	s_mov_b64 s[4:5], exec
	v_writelane_b32 v127, s4, 51
	v_writelane_b32 v127, s5, 52
	s_and_b64 s[4:5], s[4:5], vcc
                                        ; implicit-def: $vgpr119 : SGPR spill to VGPR lane
	s_mov_b64 exec, s[4:5]
	s_cbranch_execz .LBB7_215
; %bb.217:                              ;   in Loop: Header=BB7_216 Depth=2
	v_writelane_b32 v127, s80, 53
	v_writelane_b32 v127, s81, 54
	;; [unrolled: 1-line block ×64, first 2 shown]
	v_ashrrev_i32_e32 v12, 1, v4
	v_lshrrev_b32_e32 v11, 2, v1
	v_writelane_b32 v119, s68, 53
	v_max_i32_e32 v0, v11, v12
	v_writelane_b32 v119, s69, 54
	v_cmp_lt_i32_e32 vcc, v0, v10
	s_mov_b64 s[4:5], -1
	s_mov_b64 s[6:7], 0
	s_mov_b64 s[84:85], 0
	;; [unrolled: 1-line block ×6, first 2 shown]
	s_mov_b64 s[28:29], -1
	s_mov_b64 s[8:9], 0
	s_mov_b64 s[10:11], 0
	s_mov_b64 s[14:15], 0
	s_mov_b64 s[16:17], 0
	s_mov_b64 s[18:19], 0
	s_mov_b64 s[20:21], 0
	s_mov_b64 s[22:23], 0
	s_mov_b64 s[24:25], 0
	s_mov_b64 s[26:27], 0
	s_mov_b64 s[68:69], 0
	s_mov_b64 s[70:71], 0
	s_mov_b64 s[72:73], 0
	s_mov_b64 s[98:99], 0
	s_mov_b64 s[30:31], 0
	s_mov_b64 s[34:35], 0
	s_mov_b64 s[36:37], 0
	s_mov_b64 s[38:39], 0
	s_mov_b64 s[40:41], 0
	s_mov_b64 s[42:43], 0
	s_mov_b64 s[44:45], 0
	s_mov_b64 s[46:47], 0
	s_mov_b64 s[48:49], 0
	s_mov_b64 s[50:51], -1
	s_mov_b64 s[52:53], 0
                                        ; implicit-def: $vgpr0
	s_and_saveexec_b64 s[54:55], vcc
	s_cbranch_execz .LBB7_214
; %bb.218:                              ;   in Loop: Header=BB7_216 Depth=2
	v_lshl_add_u32 v0, v12, 2, v108
	v_lshl_add_u32 v6, v11, 2, v108
	buffer_load_dword v5, v0, s[0:3], 0 offen
	s_nop 0
	buffer_load_dword v0, v6, s[0:3], 0 offen
	s_mov_b64 s[56:57], -1
	s_mov_b64 s[82:83], 0
	v_mov_b32_e32 v6, -1
	s_mov_b64 s[10:11], -1
	s_mov_b64 s[6:7], -1
                                        ; implicit-def: $sgpr14
	s_waitcnt vmcnt(1)
	v_cmp_ne_u32_e32 vcc, -1, v5
	s_waitcnt vmcnt(0)
	v_cmp_ne_u32_e64 s[4:5], -1, v0
	s_and_b64 s[8:9], vcc, s[4:5]
	s_mov_b64 s[4:5], 0
	s_and_saveexec_b64 s[24:25], s[8:9]
	s_cbranch_execz .LBB7_232
; %bb.219:                              ;   in Loop: Header=BB7_216 Depth=2
	v_and_b32_e32 v4, 1, v4
	v_bfe_u32 v1, v1, 1, 1
	v_lshl_or_b32 v4, v5, 1, v4
	v_lshl_or_b32 v0, v0, 1, v1
	v_min_i32_e32 v1, v4, v0
	v_max_i32_e32 v0, v4, v0
	v_lshrrev_b32_e32 v4, 1, v1
	v_xor_b32_e32 v4, v0, v4
	s_mov_b32 s4, 0xff51afd7
	s_mov_b32 s6, 0xed558ccd
	v_mul_lo_u32 v6, v4, s4
	v_mad_u64_u32 v[4:5], s[4:5], v4, s6, 0
	v_mul_lo_u32 v7, v1, s6
	v_add3_u32 v5, v5, v6, v7
	v_lshrrev_b32_e32 v6, 1, v5
	v_xor_b32_e32 v4, v6, v4
	s_mov_b32 s4, 0x1a85ec53
	s_mov_b32 s5, 0xc4ceb9fe
	v_mul_lo_u32 v6, v5, s4
	v_mul_lo_u32 v7, v4, s5
	v_mad_u64_u32 v[4:5], s[4:5], v4, s4, 0
	v_add3_u32 v7, v5, v7, v6
	v_readlane_b32 s4, v120, 10
	v_lshrrev_b32_e32 v5, 1, v7
	v_readlane_b32 s5, v120, 11
	v_xor_b32_e32 v6, v5, v4
	v_or_b32_e32 v5, s5, v7
	v_mov_b32_e32 v4, v77
	v_cmp_ne_u64_e32 vcc, 0, v[4:5]
                                        ; implicit-def: $vgpr4_vgpr5
	s_and_saveexec_b64 s[4:5], vcc
	s_xor_b64 s[8:9], exec, s[4:5]
	s_cbranch_execz .LBB7_221
; %bb.220:                              ;   in Loop: Header=BB7_216 Depth=2
	v_readlane_b32 s10, v120, 10
	v_readlane_b32 s11, v120, 11
	v_cvt_f32_u32_e32 v4, s10
	v_cvt_f32_u32_e32 v5, s11
	s_sub_u32 s4, 0, s10
	s_subb_u32 s5, 0, s11
	v_mac_f32_e32 v4, 0x4f800000, v5
	v_rcp_f32_e32 v4, v4
	v_mul_f32_e32 v4, 0x5f7ffffc, v4
	v_mul_f32_e32 v5, 0x2f800000, v4
	v_trunc_f32_e32 v5, v5
	v_mac_f32_e32 v4, 0xcf800000, v5
	v_cvt_u32_f32_e32 v5, v5
	v_cvt_u32_f32_e32 v4, v4
	v_mul_lo_u32 v13, s4, v5
	v_mul_hi_u32 v15, s4, v4
	v_mul_lo_u32 v14, s5, v4
	v_add_u32_e32 v13, v15, v13
	v_mul_lo_u32 v16, s4, v4
	v_add_u32_e32 v13, v13, v14
	v_mul_hi_u32 v15, v4, v16
	v_mul_lo_u32 v17, v4, v13
	v_mul_hi_u32 v14, v4, v13
	v_add_co_u32_e32 v15, vcc, v15, v17
	v_addc_co_u32_e32 v14, vcc, 0, v14, vcc
	v_mul_hi_u32 v18, v5, v16
	v_mul_lo_u32 v16, v5, v16
	v_add_co_u32_e32 v15, vcc, v15, v16
	v_mul_hi_u32 v17, v5, v13
	v_addc_co_u32_e32 v14, vcc, v14, v18, vcc
	v_addc_co_u32_e32 v15, vcc, 0, v17, vcc
	v_mul_lo_u32 v13, v5, v13
	v_add_co_u32_e32 v13, vcc, v14, v13
	v_addc_co_u32_e32 v14, vcc, 0, v15, vcc
	v_add_co_u32_e32 v4, vcc, v4, v13
	v_addc_co_u32_e32 v5, vcc, v5, v14, vcc
	v_mul_lo_u32 v13, s4, v5
	v_mul_hi_u32 v14, s4, v4
	v_add_u32_e32 v13, v14, v13
	v_mul_lo_u32 v14, s5, v4
	v_add_u32_e32 v13, v13, v14
	v_mul_lo_u32 v15, s4, v4
	v_mul_hi_u32 v16, v5, v15
	v_mul_lo_u32 v17, v5, v15
	v_mul_lo_u32 v19, v4, v13
	v_mul_hi_u32 v15, v4, v15
	v_mul_hi_u32 v18, v4, v13
	v_add_co_u32_e32 v15, vcc, v15, v19
	v_addc_co_u32_e32 v18, vcc, 0, v18, vcc
	v_add_co_u32_e32 v15, vcc, v15, v17
	v_mul_hi_u32 v14, v5, v13
	v_addc_co_u32_e32 v15, vcc, v18, v16, vcc
	v_addc_co_u32_e32 v14, vcc, 0, v14, vcc
	v_mul_lo_u32 v13, v5, v13
	v_add_co_u32_e32 v13, vcc, v15, v13
	v_addc_co_u32_e32 v14, vcc, 0, v14, vcc
	v_add_co_u32_e32 v13, vcc, v4, v13
	v_addc_co_u32_e32 v14, vcc, v5, v14, vcc
	v_mad_u64_u32 v[4:5], s[4:5], v6, v14, 0
	v_mul_hi_u32 v15, v6, v13
	v_add_co_u32_e32 v16, vcc, v15, v4
	v_addc_co_u32_e32 v17, vcc, 0, v5, vcc
	v_mad_u64_u32 v[4:5], s[4:5], v7, v14, 0
	v_mad_u64_u32 v[14:15], s[4:5], v7, v13, 0
	v_add_co_u32_e32 v13, vcc, v16, v14
	v_addc_co_u32_e32 v13, vcc, v17, v15, vcc
	v_addc_co_u32_e32 v5, vcc, 0, v5, vcc
	v_add_co_u32_e32 v4, vcc, v13, v4
	v_addc_co_u32_e32 v5, vcc, 0, v5, vcc
	v_mul_lo_u32 v13, s11, v4
	v_mul_lo_u32 v14, s10, v5
	v_mad_u64_u32 v[4:5], s[4:5], s10, v4, 0
	v_add3_u32 v5, v5, v14, v13
	v_sub_u32_e32 v13, v7, v5
	v_mov_b32_e32 v14, s11
	v_sub_co_u32_e32 v4, vcc, v6, v4
	v_subb_co_u32_e64 v6, s[4:5], v13, v14, vcc
	v_subrev_co_u32_e64 v13, s[4:5], s10, v4
	v_subbrev_co_u32_e64 v15, s[6:7], 0, v6, s[4:5]
	v_cmp_le_u32_e64 s[6:7], s11, v15
	v_cndmask_b32_e64 v16, 0, -1, s[6:7]
	v_cmp_le_u32_e64 s[6:7], s10, v13
	v_subb_co_u32_e64 v6, s[4:5], v6, v14, s[4:5]
	v_cndmask_b32_e64 v17, 0, -1, s[6:7]
	v_cmp_eq_u32_e64 s[6:7], s11, v15
	v_subrev_co_u32_e64 v14, s[4:5], s10, v13
	v_subb_co_u32_e32 v5, vcc, v7, v5, vcc
	v_cndmask_b32_e64 v16, v16, v17, s[6:7]
	v_subbrev_co_u32_e64 v6, s[4:5], 0, v6, s[4:5]
	v_cmp_le_u32_e32 vcc, s11, v5
	v_cmp_ne_u32_e64 s[4:5], 0, v16
	v_cndmask_b32_e64 v7, 0, -1, vcc
	v_cmp_le_u32_e32 vcc, s10, v4
	v_cndmask_b32_e64 v6, v15, v6, s[4:5]
	v_cndmask_b32_e64 v15, 0, -1, vcc
	v_cmp_eq_u32_e32 vcc, s11, v5
	v_cndmask_b32_e32 v7, v7, v15, vcc
	v_cmp_ne_u32_e32 vcc, 0, v7
	v_cndmask_b32_e32 v5, v5, v6, vcc
	v_cndmask_b32_e64 v6, v13, v14, s[4:5]
	v_cndmask_b32_e32 v4, v4, v6, vcc
                                        ; implicit-def: $vgpr6
.LBB7_221:                              ;   in Loop: Header=BB7_216 Depth=2
	s_andn2_saveexec_b64 s[4:5], s[8:9]
	s_cbranch_execz .LBB7_223
; %bb.222:                              ;   in Loop: Header=BB7_216 Depth=2
	v_readlane_b32 s8, v120, 10
	v_cvt_f32_u32_e32 v4, s8
	s_sub_i32 s6, 0, s8
	v_readlane_b32 s9, v120, 11
	v_rcp_iflag_f32_e32 v4, v4
	v_mul_f32_e32 v4, 0x4f7ffffe, v4
	v_cvt_u32_f32_e32 v4, v4
	v_mul_lo_u32 v5, s6, v4
	v_mul_hi_u32 v5, v4, v5
	v_add_u32_e32 v4, v4, v5
	v_mul_hi_u32 v4, v6, v4
	v_mul_lo_u32 v4, v4, s8
	v_sub_u32_e32 v4, v6, v4
	v_subrev_u32_e32 v5, s8, v4
	v_cmp_le_u32_e32 vcc, s8, v4
	v_cndmask_b32_e32 v4, v4, v5, vcc
	v_subrev_u32_e32 v5, s8, v4
	v_cmp_le_u32_e32 vcc, s8, v4
	v_cndmask_b32_e32 v76, v4, v5, vcc
	v_pk_mov_b32 v[4:5], v[76:77], v[76:77] op_sel:[0,1]
.LBB7_223:                              ;   in Loop: Header=BB7_216 Depth=2
	s_or_b64 exec, exec, s[4:5]
	v_readlane_b32 s4, v120, 6
	v_lshlrev_b64 v[6:7], 3, v[4:5]
	v_readlane_b32 s5, v120, 7
	v_mov_b32_e32 v13, s5
	v_add_co_u32_e32 v6, vcc, s4, v6
	v_addc_co_u32_e32 v7, vcc, v13, v7, vcc
	global_load_dwordx2 v[6:7], v[6:7], off
	v_readlane_b32 s6, v120, 8
	v_readlane_b32 s7, v120, 9
	s_mov_b64 s[6:7], -1
                                        ; implicit-def: $sgpr10
	s_waitcnt vmcnt(0)
	v_cmp_ne_u64_e32 vcc, v[6:7], v[0:1]
	s_and_saveexec_b64 s[4:5], vcc
	s_cbranch_execz .LBB7_229
; %bb.224:                              ;   in Loop: Header=BB7_216 Depth=2
	s_mov_b64 s[6:7], 0
                                        ; implicit-def: $sgpr8_sgpr9
                                        ; implicit-def: $sgpr14_sgpr15
                                        ; implicit-def: $sgpr10_sgpr11
	s_branch .LBB7_226
.LBB7_225:                              ;   in Loop: Header=BB7_226 Depth=3
	s_or_b64 exec, exec, s[16:17]
	s_xor_b64 s[16:17], s[10:11], -1
	s_and_b64 s[18:19], exec, s[14:15]
	s_or_b64 s[6:7], s[18:19], s[6:7]
	s_andn2_b64 s[8:9], s[8:9], exec
	s_and_b64 s[16:17], s[16:17], exec
	s_or_b64 s[8:9], s[8:9], s[16:17]
	s_andn2_b64 exec, exec, s[6:7]
	s_cbranch_execz .LBB7_228
.LBB7_226:                              ;   Parent Loop BB7_15 Depth=1
                                        ;     Parent Loop BB7_216 Depth=2
                                        ; =>    This Inner Loop Header: Depth=3
	v_cmp_ne_u64_e32 vcc, -1, v[6:7]
	s_or_b64 s[10:11], s[10:11], exec
	s_or_b64 s[14:15], s[14:15], exec
                                        ; implicit-def: $vgpr6_vgpr7
	s_and_saveexec_b64 s[16:17], vcc
	s_cbranch_execz .LBB7_225
; %bb.227:                              ;   in Loop: Header=BB7_226 Depth=3
	v_add_co_u32_e32 v4, vcc, 1, v4
	v_readlane_b32 s18, v120, 10
	v_addc_co_u32_e32 v5, vcc, 0, v5, vcc
	v_readlane_b32 s19, v120, 11
	v_cmp_ne_u64_e32 vcc, s[18:19], v[4:5]
	v_cndmask_b32_e32 v5, 0, v5, vcc
	v_cndmask_b32_e32 v4, 0, v4, vcc
	v_readlane_b32 s20, v120, 6
	v_lshlrev_b64 v[6:7], 3, v[4:5]
	v_readlane_b32 s21, v120, 7
	v_mov_b32_e32 v13, s21
	v_add_co_u32_e32 v6, vcc, s20, v6
	v_addc_co_u32_e32 v7, vcc, v13, v7, vcc
	global_load_dwordx2 v[6:7], v[6:7], off
	s_andn2_b64 s[14:15], s[14:15], exec
	s_andn2_b64 s[10:11], s[10:11], exec
	v_readlane_b32 s22, v120, 8
	v_readlane_b32 s23, v120, 9
	s_waitcnt vmcnt(0)
	v_cmp_eq_u64_e32 vcc, v[6:7], v[0:1]
	s_and_b64 s[18:19], vcc, exec
	s_or_b64 s[14:15], s[14:15], s[18:19]
	s_branch .LBB7_225
.LBB7_228:                              ;   in Loop: Header=BB7_216 Depth=2
	s_or_b64 exec, exec, s[6:7]
	s_mov_b32 s10, -1
	s_orn2_b64 s[6:7], s[8:9], exec
.LBB7_229:                              ;   in Loop: Header=BB7_216 Depth=2
	s_or_b64 exec, exec, s[4:5]
	v_mov_b32_e32 v6, s10
	s_and_saveexec_b64 s[4:5], s[6:7]
	s_cbranch_execz .LBB7_231
; %bb.230:                              ;   in Loop: Header=BB7_216 Depth=2
	v_readlane_b32 s8, v120, 6
	v_lshlrev_b64 v[0:1], 2, v[4:5]
	v_readlane_b32 s10, v120, 8
	v_readlane_b32 s11, v120, 9
	v_mov_b32_e32 v4, s11
	v_add_co_u32_e32 v0, vcc, s10, v0
	v_addc_co_u32_e32 v1, vcc, v4, v1, vcc
	global_load_dword v6, v[0:1], off
	v_readlane_b32 s9, v120, 7
.LBB7_231:                              ;   in Loop: Header=BB7_216 Depth=2
	s_or_b64 exec, exec, s[4:5]
	s_waitcnt vmcnt(0)
	v_cmp_ne_u32_e32 vcc, v6, v92
	s_mov_b64 s[4:5], exec
	s_mov_b32 s14, -1
	s_xor_b64 s[6:7], exec, -1
	s_orn2_b64 s[10:11], vcc, exec
.LBB7_232:                              ;   in Loop: Header=BB7_216 Depth=2
	s_or_b64 exec, exec, s[24:25]
	v_mov_b32_e32 v0, s14
	s_mov_b64 s[28:29], -1
	s_and_saveexec_b64 s[8:9], s[10:11]
	s_cbranch_execz .LBB7_213
; %bb.233:                              ;   in Loop: Header=BB7_216 Depth=2
	v_cmp_ne_u32_e64 s[18:19], -1, v6
	v_cmp_eq_u32_e32 vcc, -1, v6
	v_mov_b32_e32 v0, s14
	s_mov_b64 s[10:11], s[6:7]
	s_mov_b64 s[14:15], s[4:5]
	s_and_saveexec_b64 s[16:17], vcc
; %bb.234:                              ;   in Loop: Header=BB7_216 Depth=2
	v_cmp_lt_i32_e32 vcc, v9, v75
	v_add_u32_e32 v1, 1, v9
	s_andn2_b64 s[18:19], s[18:19], exec
	s_and_b64 s[20:21], vcc, exec
	v_mov_b32_e32 v0, -1
	s_or_b64 s[14:15], s[4:5], exec
	s_andn2_b64 s[10:11], s[6:7], exec
	s_or_b64 s[18:19], s[18:19], s[20:21]
	v_mov_b32_e32 v9, v1
; %bb.235:                              ;   in Loop: Header=BB7_216 Depth=2
	s_or_b64 exec, exec, s[16:17]
	s_mov_b64 s[20:21], -1
	s_and_saveexec_b64 s[16:17], s[18:19]
	s_cbranch_execz .LBB7_212
; %bb.236:                              ;   in Loop: Header=BB7_216 Depth=2
	v_lshl_add_u32 v0, v12, 2, v107
	v_lshl_add_u32 v1, v11, 2, v107
	buffer_load_dword v0, v0, s[0:3], 0 offen
	s_nop 0
	buffer_load_dword v1, v1, s[0:3], 0 offen
	s_mov_b32 s20, 0x3b9aca00
	v_lshl_add_u32 v4, v10, 2, v107
	s_mov_b64 s[18:19], -1
	s_waitcnt vmcnt(0)
	v_max_i32_e32 v0, v0, v1
	v_add_u32_e32 v1, 1, v0
	v_cmp_gt_i32_e32 vcc, s20, v0
	s_mov_b64 s[20:21], -1
	buffer_store_dword v1, v4, s[0:3], 0 offen
	s_and_saveexec_b64 s[22:23], vcc
	s_cbranch_execz .LBB7_211
; %bb.237:                              ;   in Loop: Header=BB7_216 Depth=2
	v_lshl_add_u32 v0, v10, 2, v108
	v_add_u32_e32 v10, 1, v10
	v_cmp_ge_i32_e32 vcc, v10, v8
	s_xor_b64 s[20:21], exec, -1
	s_orn2_b64 s[18:19], vcc, exec
	buffer_store_dword v6, v0, s[0:3], 0 offen
	s_branch .LBB7_211
.LBB7_238:                              ;   in Loop: Header=BB7_15 Depth=1
	s_or_b64 exec, exec, s[12:13]
	s_mov_b64 s[66:67], 0
	v_mov_b32_e32 v1, 0
	s_mov_b64 s[4:5], 0
	s_and_saveexec_b64 s[6:7], s[8:9]
	s_xor_b64 s[6:7], exec, s[6:7]
	s_cbranch_execz .LBB7_240
; %bb.239:                              ;   in Loop: Header=BB7_15 Depth=1
	v_readlane_b32 s8, v118, 43
	v_readlane_b32 s9, v118, 44
	s_mov_b64 s[4:5], exec
	s_and_b64 s[66:67], s[8:9], exec
	v_mov_b32_e32 v1, v9
.LBB7_240:                              ;   in Loop: Header=BB7_15 Depth=1
	s_or_b64 exec, exec, s[6:7]
	v_readlane_b32 s8, v126, 33
	v_readlane_b32 s9, v126, 34
	s_and_b64 s[6:7], s[10:11], exec
	s_andn2_b64 s[8:9], s[8:9], exec
	s_or_b64 s[64:65], s[8:9], s[6:7]
	v_readlane_b32 s6, v118, 41
	v_readlane_b32 s8, v126, 31
	v_readlane_b32 s7, v118, 42
	v_readlane_b32 s9, v126, 32
	s_and_b64 s[6:7], s[6:7], exec
	s_andn2_b64 s[8:9], s[8:9], exec
	s_or_b64 s[62:63], s[8:9], s[6:7]
	v_readlane_b32 s6, v118, 39
	v_readlane_b32 s8, v126, 29
	;; [unrolled: 7-line block ×27, first 2 shown]
	s_and_b64 s[6:7], s[70:71], exec
	s_andn2_b64 s[8:9], s[8:9], exec
	s_or_b64 s[8:9], s[8:9], s[6:7]
	s_and_b64 s[6:7], s[68:69], exec
	v_readlane_b32 s68, v125, 41
	v_readlane_b32 s69, v125, 42
	s_andn2_b64 s[68:69], s[68:69], exec
	v_readlane_b32 s70, v127, 43
	v_readlane_b32 s72, v127, 41
	s_or_b64 s[6:7], s[68:69], s[6:7]
	s_and_b64 s[4:5], s[4:5], exec
	s_orn2_b64 s[66:67], s[66:67], exec
	v_readlane_b32 s71, v127, 44
	v_readlane_b32 s73, v127, 42
.LBB7_241:                              ;   in Loop: Header=BB7_15 Depth=1
	s_or_b64 exec, exec, s[72:73]
	s_and_saveexec_b64 s[68:69], s[66:67]
	s_cbranch_execz .LBB7_243
; %bb.242:                              ;   in Loop: Header=BB7_15 Depth=1
	v_lshlrev_b32_e32 v0, 2, v8
	v_add3_u32 v0, v0, v107, -4
	buffer_load_dword v20, v0, s[0:3], 0 offen
	s_or_b64 s[4:5], s[4:5], exec
	v_mov_b32_e32 v0, v1
.LBB7_243:                              ;   in Loop: Header=BB7_15 Depth=1
	s_or_b64 exec, exec, s[68:69]
	v_readlane_b32 s66, v126, 33
	v_readlane_b32 s67, v126, 34
	s_and_b64 s[64:65], s[64:65], exec
	s_andn2_b64 s[66:67], s[66:67], exec
	s_or_b64 s[76:77], s[66:67], s[64:65]
	v_readlane_b32 s64, v126, 31
	v_readlane_b32 s65, v126, 32
	s_and_b64 s[62:63], s[62:63], exec
	s_andn2_b64 s[64:65], s[64:65], exec
	s_or_b64 s[92:93], s[64:65], s[62:63]
	;; [unrolled: 5-line block ×17, first 2 shown]
	s_mov_b64 s[34:35], s[38:39]
	s_mov_b64 s[38:39], s[30:31]
	v_readlane_b32 s30, v125, 63
	v_readlane_b32 s31, v126, 0
	s_and_b64 s[28:29], s[28:29], exec
	s_andn2_b64 s[30:31], s[30:31], exec
	s_or_b64 s[28:29], s[30:31], s[28:29]
	s_mov_b64 s[30:31], s[40:41]
	s_mov_b64 s[40:41], s[28:29]
	v_readlane_b32 s28, v125, 61
	v_readlane_b32 s29, v125, 62
	s_and_b64 s[26:27], s[26:27], exec
	s_andn2_b64 s[28:29], s[28:29], exec
	s_or_b64 s[26:27], s[28:29], s[26:27]
	;; [unrolled: 7-line block ×9, first 2 shown]
	v_readlane_b32 s12, v125, 45
	v_readlane_b32 s13, v125, 46
	s_and_b64 s[10:11], s[10:11], exec
	s_andn2_b64 s[12:13], s[12:13], exec
	s_or_b64 s[58:59], s[12:13], s[10:11]
	v_readlane_b32 s10, v125, 43
	v_readlane_b32 s11, v125, 44
	s_and_b64 s[8:9], s[8:9], exec
	s_andn2_b64 s[10:11], s[10:11], exec
	s_or_b64 s[60:61], s[10:11], s[8:9]
	;; [unrolled: 5-line block ×3, first 2 shown]
	s_andn2_b64 s[6:7], s[70:71], exec
	s_and_b64 s[4:5], s[4:5], exec
	s_or_b64 s[70:71], s[6:7], s[4:5]
.LBB7_244:                              ;   in Loop: Header=BB7_15 Depth=1
	v_readlane_b32 s4, v127, 37
	v_readlane_b32 s5, v127, 38
	s_or_b64 exec, exec, s[4:5]
	s_mov_b64 s[4:5], -1
	s_mov_b64 s[6:7], exec
	v_writelane_b32 v127, s6, 39
	v_writelane_b32 v127, s7, 40
	s_and_b64 s[6:7], s[6:7], s[70:71]
	s_mov_b64 exec, s[6:7]
	s_cbranch_execz .LBB7_3
; %bb.245:                              ;   in Loop: Header=BB7_15 Depth=1
	v_writelane_b32 v118, s66, 45
	v_writelane_b32 v118, s67, 46
	v_ashrrev_i32_e32 v1, 31, v93
	v_cmp_lt_i32_e32 vcc, -1, v0
	s_and_saveexec_b64 s[8:9], vcc
	s_cbranch_execz .LBB7_255
; %bb.246:                              ;   in Loop: Header=BB7_15 Depth=1
	v_cmp_ne_u32_e32 vcc, -1, v93
	v_mov_b32_e32 v4, 1
	s_and_saveexec_b64 s[10:11], vcc
	s_cbranch_execz .LBB7_254
; %bb.247:                              ;   in Loop: Header=BB7_15 Depth=1
	v_cmp_ge_i32_e32 vcc, v0, v93
	s_and_saveexec_b64 s[12:13], vcc
	s_cbranch_execz .LBB7_251
; %bb.248:                              ;   in Loop: Header=BB7_15 Depth=1
	v_cmp_eq_u32_e32 vcc, v0, v93
	s_mov_b64 s[4:5], 0
	s_and_saveexec_b64 s[14:15], vcc
	s_cbranch_execz .LBB7_250
; %bb.249:                              ;   in Loop: Header=BB7_15 Depth=1
	s_mov_b32 s4, 0
	s_mov_b32 s5, 2
	v_cmp_gt_u64_e32 vcc, s[4:5], v[2:3]
	v_lshrrev_b32_e32 v0, 1, v2
	v_and_b32_e32 v2, 1, v2
	v_cmp_eq_u32_e64 s[4:5], v0, v3
	v_cmp_eq_u32_e64 s[6:7], v2, v3
	s_and_b64 s[4:5], s[4:5], s[6:7]
	s_and_b64 s[4:5], vcc, s[4:5]
	s_waitcnt vmcnt(0)
	v_cmp_lt_i32_e32 vcc, v20, v110
	s_or_b64 s[4:5], s[4:5], vcc
	s_and_b64 s[4:5], s[4:5], exec
.LBB7_250:                              ;   in Loop: Header=BB7_15 Depth=1
	s_or_b64 exec, exec, s[14:15]
	s_orn2_b64 s[4:5], s[4:5], exec
.LBB7_251:                              ;   in Loop: Header=BB7_15 Depth=1
	s_or_b64 exec, exec, s[12:13]
	s_and_saveexec_b64 s[6:7], s[4:5]
; %bb.252:                              ;   in Loop: Header=BB7_15 Depth=1
	v_mov_b32_e32 v1, 1
; %bb.253:                              ;   in Loop: Header=BB7_15 Depth=1
	s_or_b64 exec, exec, s[6:7]
	v_mov_b32_e32 v4, v1
.LBB7_254:                              ;   in Loop: Header=BB7_15 Depth=1
	s_or_b64 exec, exec, s[10:11]
	v_mov_b32_e32 v1, v4
.LBB7_255:                              ;   in Loop: Header=BB7_15 Depth=1
	s_or_b64 exec, exec, s[8:9]
	v_writelane_b32 v118, s62, 47
	v_writelane_b32 v118, s63, 48
	;; [unrolled: 1-line block ×16, first 2 shown]
                                        ; implicit-def: $vgpr119 : SGPR spill to VGPR lane
	v_writelane_b32 v118, s46, 63
	v_writelane_b32 v119, s47, 0
	;; [unrolled: 1-line block ×32, first 2 shown]
	v_readlane_b32 s14, v118, 45
	v_writelane_b32 v119, s68, 31
	v_cmp_ne_u32_e32 vcc, -1, v1
	s_mov_b64 s[66:67], 0
	v_readlane_b32 s15, v118, 46
	s_mov_b64 s[12:13], s[64:65]
	v_writelane_b32 v119, s69, 32
	s_mov_b64 s[10:11], s[68:69]
	s_mov_b64 s[8:9], s[90:91]
	;; [unrolled: 1-line block ×4, first 2 shown]
	s_and_saveexec_b64 s[64:65], vcc
	s_xor_b64 s[64:65], exec, s[64:65]
	v_writelane_b32 v119, s64, 33
	v_writelane_b32 v119, s65, 34
	s_cbranch_execz .LBB7_276
; %bb.256:                              ;   in Loop: Header=BB7_15 Depth=1
	v_mov_b32_e32 v2, 0x9038
	buffer_load_dword v0, v2, s[0:3], 0 offen
	v_mov_b32_e32 v2, 0x9038
	buffer_load_dword v4, v2, s[0:3], 0 offen offset:2056
	v_readlane_b32 s4, v120, 36
	v_readlane_b32 s10, v120, 42
	v_readlane_b32 s11, v120, 43
	v_mov_b32_e32 v3, s11
	v_add_co_u32_e32 v2, vcc, s10, v90
	v_addc_co_u32_e32 v3, vcc, v3, v91, vcc
	v_cmp_eq_u32_e32 vcc, 0, v1
	v_writelane_b32 v119, s76, 35
	v_writelane_b32 v119, s77, 36
	v_readlane_b32 s5, v120, 37
	s_mov_b64 s[14:15], -1
	s_mov_b64 s[64:65], 0
	s_mov_b64 s[62:63], 0
	;; [unrolled: 1-line block ×28, first 2 shown]
	v_readlane_b32 s6, v120, 38
	v_readlane_b32 s7, v120, 39
	;; [unrolled: 1-line block ×4, first 2 shown]
	s_waitcnt vmcnt(0)
	v_cndmask_b32_e32 v6, v4, v0, vcc
	v_sub_u32_e32 v0, v6, v40
	global_store_dword v[2:3], v0, off
	v_cmp_lt_i32_e64 s[4:5], 0, v0
	s_mov_b64 s[6:7], exec
	v_writelane_b32 v119, s6, 37
	v_writelane_b32 v119, s7, 38
	s_and_b64 s[4:5], s[6:7], s[4:5]
	s_mov_b64 exec, s[4:5]
	s_cbranch_execz .LBB7_275
; %bb.257:                              ;   in Loop: Header=BB7_15 Depth=1
	v_readlane_b32 s4, v120, 36
	v_readlane_b32 s5, v120, 37
	;; [unrolled: 1-line block ×4, first 2 shown]
	v_mov_b32_e32 v1, s9
	v_add_co_u32_e64 v0, s[4:5], s8, v90
	v_addc_co_u32_e64 v1, s[4:5], v1, v91, s[4:5]
	global_load_dword v2, v[0:1], off
	v_readlane_b32 s6, v120, 38
	v_readlane_b32 s7, v120, 39
	;; [unrolled: 1-line block ×4, first 2 shown]
	s_mov_b64 s[6:7], -1
	s_mov_b64 s[8:9], 0
	s_mov_b64 s[10:11], 0
	;; [unrolled: 1-line block ×7, first 2 shown]
	s_waitcnt vmcnt(0)
	v_cmp_eq_u32_e64 s[4:5], -1, v2
	s_mov_b64 s[26:27], exec
	v_writelane_b32 v119, s26, 39
	v_writelane_b32 v119, s27, 40
	s_and_b64 s[4:5], s[26:27], s[4:5]
	s_mov_b64 exec, s[4:5]
	s_cbranch_execz .LBB7_274
; %bb.258:                              ;   in Loop: Header=BB7_15 Depth=1
	s_mov_b64 s[80:81], -1
	s_mov_b64 s[82:83], 0
	s_mov_b64 s[84:85], 0
	;; [unrolled: 1-line block ×4, first 2 shown]
	s_mov_b64 s[76:77], -1
	global_store_dword v[0:1], v77, off
	v_cmp_gt_i32_e64 s[4:5], v6, v40
	s_mov_b64 s[6:7], exec
	v_writelane_b32 v119, s6, 41
	v_writelane_b32 v119, s7, 42
	s_and_b64 s[4:5], s[6:7], s[4:5]
	s_mov_b64 exec, s[4:5]
	s_cbranch_execz .LBB7_273
; %bb.259:                              ;   in Loop: Header=BB7_15 Depth=1
	v_cndmask_b32_e32 v0, v45, v44, vcc
	v_writelane_b32 v119, s90, 43
	v_lshl_add_u32 v7, v40, 3, v0
	s_mov_b32 s33, 0
	v_mov_b32_e32 v0, v74
	v_writelane_b32 v119, s91, 44
                                        ; implicit-def: $sgpr54_sgpr55
                                        ; implicit-def: $sgpr52_sgpr53
                                        ; implicit-def: $sgpr48_sgpr49
                                        ; implicit-def: $sgpr46_sgpr47
                                        ; implicit-def: $sgpr44_sgpr45
                                        ; implicit-def: $sgpr42_sgpr43
                                        ; implicit-def: $sgpr40_sgpr41
                                        ; implicit-def: $sgpr38_sgpr39
                                        ; implicit-def: $sgpr36_sgpr37
                                        ; implicit-def: $sgpr34_sgpr35
                                        ; implicit-def: $sgpr30_sgpr31
                                        ; implicit-def: $sgpr28_sgpr29
                                        ; implicit-def: $sgpr6_sgpr7
                                        ; implicit-def: $sgpr8_sgpr9
                                        ; implicit-def: $sgpr10_sgpr11
                                        ; implicit-def: $sgpr12_sgpr13
                                        ; implicit-def: $sgpr98_sgpr99
                                        ; implicit-def: $sgpr72_sgpr73
                                        ; implicit-def: $sgpr70_sgpr71
                                        ; implicit-def: $sgpr68_sgpr69
                                        ; implicit-def: $sgpr26_sgpr27
                                        ; implicit-def: $sgpr24_sgpr25
                                        ; implicit-def: $sgpr22_sgpr23
                                        ; implicit-def: $sgpr20_sgpr21
                                        ; implicit-def: $sgpr18_sgpr19
                                        ; implicit-def: $sgpr16_sgpr17
                                        ; implicit-def: $sgpr14_sgpr15
                                        ; implicit-def: $sgpr4_sgpr5
                                        ; implicit-def: $sgpr58_sgpr59
                                        ; implicit-def: $sgpr56_sgpr57
                                        ; implicit-def: $sgpr60_sgpr61
                                        ; implicit-def: $sgpr62_sgpr63
	s_branch .LBB7_261
.LBB7_260:                              ;   in Loop: Header=BB7_261 Depth=2
	s_or_b64 exec, exec, s[78:79]
	s_xor_b64 s[74:75], s[74:75], -1
	s_and_b64 s[66:67], exec, s[66:67]
	s_or_b64 s[50:51], s[66:67], s[50:51]
	s_andn2_b64 s[56:57], s[56:57], exec
	s_and_b64 s[66:67], s[62:63], exec
	s_or_b64 s[56:57], s[56:57], s[66:67]
	s_andn2_b64 s[58:59], s[58:59], exec
	s_and_b64 s[66:67], s[60:61], exec
	;; [unrolled: 3-line block ×29, first 2 shown]
	s_andn2_b64 s[54:55], s[54:55], exec
	s_and_b64 s[64:65], s[64:65], exec
	s_or_b64 s[52:53], s[52:53], s[66:67]
	s_or_b64 s[54:55], s[54:55], s[64:65]
	s_andn2_b64 exec, exec, s[50:51]
	s_cbranch_execz .LBB7_272
.LBB7_261:                              ;   Parent Loop BB7_15 Depth=1
                                        ; =>  This Inner Loop Header: Depth=2
	s_cmp_lg_u32 s33, 8
	s_mov_b64 s[66:67], -1
	s_cbranch_scc1 .LBB7_269
; %bb.262:                              ;   in Loop: Header=BB7_261 Depth=2
	s_mov_b64 s[74:75], exec
	v_mbcnt_lo_u32_b32 v1, s74, 0
	v_mbcnt_hi_u32_b32 v1, s75, v1
	v_cmp_eq_u32_e32 vcc, 0, v1
                                        ; implicit-def: $vgpr2
	s_and_saveexec_b64 s[64:65], vcc
	s_cbranch_execz .LBB7_264
; %bb.263:                              ;   in Loop: Header=BB7_261 Depth=2
	s_bcnt1_i32_b64 s33, s[74:75]
	v_readlane_b32 s76, v120, 18
	v_mov_b32_e32 v2, s33
	v_readlane_b32 s77, v120, 19
	v_readlane_b32 s78, v120, 20
	;; [unrolled: 1-line block ×3, first 2 shown]
	s_nop 2
	global_atomic_add v2, v77, v2, s[76:77] glc
.LBB7_264:                              ;   in Loop: Header=BB7_261 Depth=2
	s_or_b64 exec, exec, s[64:65]
	s_waitcnt vmcnt(0)
	v_readfirstlane_b32 s33, v2
	v_add_u32_e32 v2, s33, v1
	v_readlane_b32 s33, v120, 17
	v_cmp_gt_i32_e32 vcc, s33, v2
	s_mov_b64 s[64:65], 0
	s_mov_b64 s[74:75], -1
	s_mov_b64 s[76:77], 0
	s_mov_b64 s[78:79], 0
	s_mov_b64 s[80:81], -1
                                        ; implicit-def: $sgpr33
	s_and_saveexec_b64 s[82:83], vcc
	s_cbranch_execz .LBB7_268
; %bb.265:                              ;   in Loop: Header=BB7_261 Depth=2
	v_ashrrev_i32_e32 v3, 31, v2
	v_readlane_b32 s84, v120, 36
	v_lshlrev_b64 v[4:5], 2, v[2:3]
	v_readlane_b32 s88, v120, 40
	v_readlane_b32 s89, v120, 41
	v_mov_b32_e32 v1, s89
	v_add_co_u32_e32 v4, vcc, s88, v4
	v_addc_co_u32_e32 v5, vcc, v1, v5, vcc
	global_load_dword v1, v[4:5], off
	v_readlane_b32 s85, v120, 37
	v_readlane_b32 s86, v120, 38
	;; [unrolled: 1-line block ×5, first 2 shown]
                                        ; implicit-def: $sgpr33
	s_waitcnt vmcnt(0)
	v_cmp_eq_u32_e32 vcc, -1, v1
	s_and_saveexec_b64 s[78:79], vcc
	s_cbranch_execz .LBB7_267
; %bb.266:                              ;   in Loop: Header=BB7_261 Depth=2
	v_ashrrev_i32_e32 v1, 31, v0
	v_readlane_b32 s84, v120, 36
	v_lshlrev_b64 v[0:1], 2, v[0:1]
	v_readlane_b32 s88, v120, 40
	v_readlane_b32 s89, v120, 41
	v_mov_b32_e32 v3, s89
	v_add_co_u32_e32 v0, vcc, s88, v0
	s_mov_b64 s[76:77], exec
	v_addc_co_u32_e32 v1, vcc, v3, v1, vcc
	s_mov_b32 s33, 0
	v_readlane_b32 s85, v120, 37
	v_readlane_b32 s86, v120, 38
	;; [unrolled: 1-line block ×5, first 2 shown]
	global_store_dword v[0:1], v2, off
	global_store_dword v[4:5], v77, off
.LBB7_267:                              ;   in Loop: Header=BB7_261 Depth=2
	s_or_b64 exec, exec, s[78:79]
	v_readlane_b32 s90, v119, 43
	s_mov_b64 s[78:79], exec
	s_xor_b64 s[80:81], exec, -1
	s_and_b64 s[76:77], s[76:77], exec
	v_mov_b32_e32 v0, v2
	v_readlane_b32 s91, v119, 44
.LBB7_268:                              ;   in Loop: Header=BB7_261 Depth=2
	s_or_b64 exec, exec, s[82:83]
	s_branch .LBB7_270
.LBB7_269:                              ;   in Loop: Header=BB7_261 Depth=2
	s_mov_b64 s[76:77], -1
                                        ; implicit-def: $sgpr78_sgpr79
                                        ; implicit-def: $sgpr80_sgpr81
                                        ; implicit-def: $sgpr74_sgpr75
                                        ; implicit-def: $sgpr64_sgpr65
.LBB7_270:                              ;   in Loop: Header=BB7_261 Depth=2
	s_andn2_b64 s[62:63], s[62:63], exec
	s_and_b64 s[80:81], s[80:81], exec
	s_andn2_b64 s[60:61], s[60:61], exec
	s_and_b64 s[78:79], s[78:79], exec
	s_or_b64 s[62:63], s[62:63], s[80:81]
	s_or_b64 s[60:61], s[60:61], s[78:79]
	s_and_saveexec_b64 s[78:79], s[76:77]
	s_cbranch_execz .LBB7_260
; %bb.271:                              ;   in Loop: Header=BB7_261 Depth=2
	buffer_load_dword v2, v7, s[0:3], 0 offen
	buffer_load_dword v3, v7, s[0:3], 0 offen offset:4
	v_lshl_add_u32 v4, v0, 3, s33
	v_readlane_b32 s80, v120, 36
	v_add_u32_e32 v40, 1, v40
	v_ashrrev_i32_e32 v5, 31, v4
	v_readlane_b32 s82, v120, 38
	v_readlane_b32 s83, v120, 39
	v_cmp_ge_i32_e32 vcc, v40, v6
	v_lshlrev_b64 v[4:5], 3, v[4:5]
	s_add_i32 s76, s33, 1
	v_mov_b32_e32 v1, s83
	s_orn2_b64 s[66:67], vcc, exec
	v_add_co_u32_e32 v4, vcc, s82, v4
	v_add_u32_e32 v7, 8, v7
	s_andn2_b64 s[74:75], s[74:75], exec
	s_andn2_b64 s[62:63], s[62:63], exec
	;; [unrolled: 1-line block ×3, first 2 shown]
	v_addc_co_u32_e32 v5, vcc, v1, v5, vcc
	s_mov_b32 s33, s76
	v_readlane_b32 s81, v120, 37
	v_readlane_b32 s84, v120, 40
	;; [unrolled: 1-line block ×5, first 2 shown]
	s_waitcnt vmcnt(0)
	global_store_dwordx2 v[4:5], v[2:3], off
	s_branch .LBB7_260
.LBB7_272:                              ;   in Loop: Header=BB7_15 Depth=1
	s_or_b64 exec, exec, s[50:51]
	s_and_b64 s[50:51], s[54:55], exec
	s_and_b64 s[54:55], s[52:53], exec
	;; [unrolled: 1-line block ×4, first 2 shown]
	s_orn2_b64 s[76:77], s[48:49], exec
	s_and_b64 s[74:75], s[46:47], exec
	s_and_b64 s[66:67], s[44:45], exec
	;; [unrolled: 1-line block ×24, first 2 shown]
	s_orn2_b64 s[80:81], s[4:5], exec
	v_readlane_b32 s33, v120, 44
.LBB7_273:                              ;   in Loop: Header=BB7_15 Depth=1
	v_readlane_b32 s4, v119, 41
	v_readlane_b32 s5, v119, 42
	s_or_b64 exec, exec, s[4:5]
	s_and_b64 s[24:25], s[50:51], exec
	s_and_b64 s[72:73], s[54:55], exec
	;; [unrolled: 1-line block ×4, first 2 shown]
	s_orn2_b64 s[6:7], s[76:77], exec
	s_and_b64 s[14:15], s[74:75], exec
	s_and_b64 s[16:17], s[66:67], exec
	;; [unrolled: 1-line block ×25, first 2 shown]
.LBB7_274:                              ;   in Loop: Header=BB7_15 Depth=1
	v_readlane_b32 s4, v119, 39
	v_readlane_b32 s5, v119, 40
	s_or_b64 exec, exec, s[4:5]
	s_and_b64 s[78:79], s[24:25], exec
	s_and_b64 s[72:73], s[72:73], exec
	;; [unrolled: 1-line block ×5, first 2 shown]
	s_orn2_b64 s[14:15], s[14:15], exec
	s_and_b64 s[16:17], s[16:17], exec
	s_and_b64 s[18:19], s[18:19], exec
	;; [unrolled: 1-line block ×24, first 2 shown]
.LBB7_275:                              ;   in Loop: Header=BB7_15 Depth=1
	v_readlane_b32 s4, v119, 37
	v_readlane_b32 s5, v119, 38
	s_or_b64 exec, exec, s[4:5]
	v_readlane_b32 s76, v119, 35
	v_readlane_b32 s77, v119, 36
	s_and_b64 s[4:5], s[78:79], exec
	s_andn2_b64 s[6:7], s[76:77], exec
	s_or_b64 s[4:5], s[6:7], s[4:5]
	s_and_b64 s[6:7], s[72:73], exec
	s_andn2_b64 s[8:9], s[92:93], exec
	v_readlane_b32 s12, v119, 31
	s_or_b64 s[6:7], s[8:9], s[6:7]
	s_and_b64 s[8:9], s[70:71], exec
	s_andn2_b64 s[10:11], s[90:91], exec
	v_readlane_b32 s13, v119, 32
	s_or_b64 s[8:9], s[10:11], s[8:9]
	s_and_b64 s[10:11], s[68:69], exec
	s_andn2_b64 s[12:13], s[12:13], exec
	s_or_b64 s[10:11], s[12:13], s[10:11]
	s_and_b64 s[12:13], s[66:67], exec
	v_readlane_b32 s66, v119, 29
	v_readlane_b32 s67, v119, 30
	s_andn2_b64 s[66:67], s[66:67], exec
	s_or_b64 s[12:13], s[66:67], s[12:13]
	v_readlane_b32 s66, v118, 45
	v_readlane_b32 s67, v118, 46
	s_and_b64 s[14:15], s[14:15], exec
	s_andn2_b64 s[66:67], s[66:67], exec
	s_or_b64 s[14:15], s[66:67], s[14:15]
	v_readlane_b32 s66, v119, 27
	v_readlane_b32 s67, v119, 28
	s_and_b64 s[16:17], s[16:17], exec
	;; [unrolled: 5-line block ×24, first 2 shown]
	s_andn2_b64 s[66:67], s[66:67], exec
	s_or_b64 s[62:63], s[66:67], s[62:63]
	s_and_b64 s[66:67], s[64:65], exec
                                        ; implicit-def: $vgpr90_vgpr91
.LBB7_276:                              ;   in Loop: Header=BB7_15 Depth=1
	v_readlane_b32 s64, v119, 33
	v_readlane_b32 s65, v119, 34
	s_andn2_saveexec_b64 s[64:65], s[64:65]
	s_cbranch_execz .LBB7_278
; %bb.277:                              ;   in Loop: Header=BB7_15 Depth=1
	v_readlane_b32 s68, v120, 36
	v_readlane_b32 s74, v120, 42
	;; [unrolled: 1-line block ×3, first 2 shown]
	v_mov_b32_e32 v1, s75
	v_add_co_u32_e32 v0, vcc, s74, v90
	v_addc_co_u32_e32 v1, vcc, v1, v91, vcc
	s_or_b64 s[66:67], s[66:67], exec
	v_readlane_b32 s69, v120, 37
	v_readlane_b32 s70, v120, 38
	;; [unrolled: 1-line block ×5, first 2 shown]
	global_store_dword v[0:1], v77, off
.LBB7_278:                              ;   in Loop: Header=BB7_15 Depth=1
	s_or_b64 exec, exec, s[64:65]
	s_mov_b64 s[64:65], -1
	s_and_saveexec_b64 s[68:69], s[66:67]
	s_cbranch_execz .LBB7_2
; %bb.279:                              ;   in Loop: Header=BB7_15 Depth=1
	v_readlane_b32 s64, v120, 14
	v_add_u32_e32 v74, s64, v74
	v_cmp_le_i32_e32 vcc, s33, v74
	s_andn2_b64 s[4:5], s[4:5], exec
	s_or_b64 s[6:7], s[6:7], exec
	s_andn2_b64 s[8:9], s[8:9], exec
	s_andn2_b64 s[10:11], s[10:11], exec
	;; [unrolled: 1-line block ×27, first 2 shown]
	s_orn2_b64 s[64:65], vcc, exec
	s_branch .LBB7_2
.LBB7_280:
	v_readlane_b32 s4, v120, 24
	v_readlane_b32 s5, v120, 25
	s_or_b64 exec, exec, s[4:5]
	v_readlane_b32 s4, v120, 51
	v_readlane_b32 s5, v120, 52
	s_mov_b64 s[6:7], -1
	s_xor_b64 s[4:5], s[4:5], -1
	s_mov_b64 s[8:9], 0
	s_mov_b64 s[10:11], 0
	;; [unrolled: 1-line block ×28, first 2 shown]
	s_mov_b64 s[26:27], exec
	v_readlane_b32 s20, v121, 43
	v_readlane_b32 s21, v121, 44
	s_and_b64 s[20:21], s[26:27], s[20:21]
	s_mov_b64 exec, s[20:21]
	s_cbranch_execz .LBB7_340
; %bb.281:
	s_mov_b64 s[10:11], -1
	s_mov_b64 s[20:21], 0
	s_mov_b64 s[34:35], 0
	;; [unrolled: 1-line block ×7, first 2 shown]
	s_mov_b64 s[28:29], exec
	v_readlane_b32 s6, v121, 41
	v_readlane_b32 s7, v121, 42
	s_and_b64 s[6:7], s[28:29], s[6:7]
	s_mov_b64 exec, s[6:7]
	s_cbranch_execz .LBB7_339
; %bb.282:
	s_mov_b64 s[8:9], -1
	s_mov_b64 s[6:7], 0
	s_mov_b64 s[34:35], exec
	v_readlane_b32 s10, v121, 39
	v_readlane_b32 s11, v121, 40
	s_and_b64 s[10:11], s[34:35], s[10:11]
	s_mov_b64 exec, s[10:11]
	s_cbranch_execz .LBB7_338
; %bb.283:
	s_mov_b64 s[10:11], -1
	s_mov_b64 s[36:37], exec
	v_readlane_b32 s8, v121, 37
	v_readlane_b32 s9, v121, 38
	s_and_b64 s[8:9], s[36:37], s[8:9]
	s_mov_b64 exec, s[8:9]
	s_cbranch_execz .LBB7_337
; %bb.284:
	s_mov_b64 s[8:9], -1
	;; [unrolled: 8-line block ×24, first 2 shown]
	s_mov_b64 s[10:11], 0
	s_mov_b64 s[82:83], exec
	v_readlane_b32 s12, v120, 55
	v_readlane_b32 s13, v120, 56
	s_and_b64 s[12:13], s[82:83], s[12:13]
	s_mov_b64 exec, s[12:13]
	s_cbranch_execz .LBB7_314
; %bb.307:
	s_mov_b64 s[6:7], -1
	s_mov_b64 s[8:9], 0
	s_mov_b64 s[10:11], exec
	v_readlane_b32 s12, v120, 53
	v_readlane_b32 s13, v120, 54
	s_and_b64 s[12:13], s[10:11], s[12:13]
	s_xor_b64 s[84:85], s[12:13], s[10:11]
	s_mov_b64 exec, s[12:13]
	s_cbranch_execz .LBB7_313
; %bb.308:
	s_and_saveexec_b64 s[6:7], s[4:5]
	s_xor_b64 s[86:87], exec, s[6:7]
	s_cbranch_execz .LBB7_310
; %bb.309:
	v_readlane_b32 s4, v120, 0
	v_readlane_b32 s5, v120, 1
	s_add_u32 s8, s4, 0x80
	s_addc_u32 s9, s5, 0
	s_getpc_b64 s[4:5]
	s_add_u32 s4, s4, .str.15@rel32@lo+4
	s_addc_u32 s5, s5, .str.15@rel32@hi+12
	s_getpc_b64 s[6:7]
	s_add_u32 s6, s6, .str.16@rel32@lo+4
	s_addc_u32 s7, s7, .str.16@rel32@hi+12
	s_getpc_b64 s[10:11]
	s_add_u32 s10, s10, __PRETTY_FUNCTION__._ZN3sop10minatoIsopEPKjiP7VecsMemIjLi8192EE@rel32@lo+4
	s_addc_u32 s11, s11, __PRETTY_FUNCTION__._ZN3sop10minatoIsopEPKjiP7VecsMemIjLi8192EE@rel32@hi+12
	v_mov_b32_e32 v0, s4
	v_mov_b32_e32 v1, s5
	;; [unrolled: 1-line block ×6, first 2 shown]
	s_waitcnt vmcnt(0)
	v_mov_b32_e32 v6, s11
	s_getpc_b64 s[12:13]
	s_add_u32 s12, s12, __assert_fail@rel32@lo+4
	s_addc_u32 s13, s13, __assert_fail@rel32@hi+12
	s_swappc_b64 s[30:31], s[12:13]
.LBB7_310:
	s_andn2_saveexec_b64 s[86:87], s[86:87]
	s_cbranch_execz .LBB7_312
; %bb.311:
	v_readlane_b32 s4, v120, 0
	v_readlane_b32 s5, v120, 1
	s_add_u32 s8, s4, 0x80
	s_addc_u32 s9, s5, 0
	s_getpc_b64 s[4:5]
	s_add_u32 s4, s4, .str.15@rel32@lo+4
	s_addc_u32 s5, s5, .str.15@rel32@hi+12
	s_getpc_b64 s[6:7]
	s_add_u32 s6, s6, .str.16@rel32@lo+4
	s_addc_u32 s7, s7, .str.16@rel32@hi+12
	s_getpc_b64 s[10:11]
	s_add_u32 s10, s10, __PRETTY_FUNCTION__._ZN3sop10minatoIsopEPKjiP7VecsMemIjLi8192EE@rel32@lo+4
	s_addc_u32 s11, s11, __PRETTY_FUNCTION__._ZN3sop10minatoIsopEPKjiP7VecsMemIjLi8192EE@rel32@hi+12
	v_mov_b32_e32 v0, s4
	v_mov_b32_e32 v1, s5
	;; [unrolled: 1-line block ×6, first 2 shown]
	s_waitcnt vmcnt(0)
	v_mov_b32_e32 v6, s11
	s_getpc_b64 s[12:13]
	s_add_u32 s12, s12, __assert_fail@rel32@lo+4
	s_addc_u32 s13, s13, __assert_fail@rel32@hi+12
	s_swappc_b64 s[30:31], s[12:13]
.LBB7_312:
	s_or_b64 exec, exec, s[86:87]
	s_mov_b64 s[8:9], exec
	s_xor_b64 s[6:7], exec, -1
.LBB7_313:
	s_or_b64 exec, exec, s[84:85]
	s_and_b64 s[10:11], s[8:9], exec
	s_xor_b64 s[8:9], exec, -1
	s_and_b64 s[6:7], s[6:7], exec
.LBB7_314:
	s_or_b64 exec, exec, s[82:83]
	s_and_b64 s[12:13], s[10:11], exec
	s_xor_b64 s[10:11], exec, -1
	s_and_b64 s[16:17], s[8:9], exec
	s_and_b64 s[6:7], s[6:7], exec
.LBB7_315:
	s_or_b64 exec, exec, s[80:81]
	s_and_b64 s[14:15], s[12:13], exec
	s_xor_b64 s[8:9], exec, -1
	s_and_b64 s[12:13], s[10:11], exec
	s_and_b64 s[16:17], s[16:17], exec
	;; [unrolled: 1-line block ×3, first 2 shown]
.LBB7_316:
	s_or_b64 exec, exec, s[78:79]
	s_and_b64 s[20:21], s[14:15], exec
	s_xor_b64 s[10:11], exec, -1
	s_and_b64 s[14:15], s[8:9], exec
	s_and_b64 s[12:13], s[12:13], exec
	s_and_b64 s[18:19], s[16:17], exec
	s_and_b64 s[6:7], s[6:7], exec
.LBB7_317:
	s_or_b64 exec, exec, s[76:77]
	s_and_b64 s[22:23], s[20:21], exec
	s_xor_b64 s[8:9], exec, -1
	s_and_b64 s[16:17], s[10:11], exec
	s_and_b64 s[14:15], s[14:15], exec
	;; [unrolled: 1-line block ×5, first 2 shown]
.LBB7_318:
	s_or_b64 exec, exec, s[74:75]
	s_and_b64 s[22:23], s[22:23], exec
	s_xor_b64 s[10:11], exec, -1
	s_and_b64 s[18:19], s[8:9], exec
	s_and_b64 s[16:17], s[16:17], exec
	;; [unrolled: 1-line block ×6, first 2 shown]
.LBB7_319:
	s_or_b64 exec, exec, s[72:73]
	s_and_b64 s[24:25], s[22:23], exec
	s_xor_b64 s[8:9], exec, -1
	s_and_b64 s[22:23], s[10:11], exec
	s_and_b64 s[18:19], s[18:19], exec
	;; [unrolled: 1-line block ×7, first 2 shown]
.LBB7_320:
	s_or_b64 exec, exec, s[70:71]
	s_and_b64 s[30:31], s[24:25], exec
	s_xor_b64 s[10:11], exec, -1
	s_and_b64 s[24:25], s[8:9], exec
	s_and_b64 s[22:23], s[22:23], exec
	;; [unrolled: 1-line block ×8, first 2 shown]
.LBB7_321:
	s_or_b64 exec, exec, s[68:69]
	s_and_b64 s[68:69], s[30:31], exec
	s_xor_b64 s[8:9], exec, -1
	s_and_b64 s[30:31], s[10:11], exec
	s_and_b64 s[24:25], s[24:25], exec
	;; [unrolled: 1-line block ×9, first 2 shown]
.LBB7_322:
	s_or_b64 exec, exec, s[66:67]
	s_and_b64 s[66:67], s[68:69], exec
	s_xor_b64 s[10:11], exec, -1
	s_and_b64 s[70:71], s[8:9], exec
	s_and_b64 s[30:31], s[30:31], exec
	;; [unrolled: 1-line block ×10, first 2 shown]
.LBB7_323:
	s_or_b64 exec, exec, s[64:65]
	s_and_b64 s[68:69], s[66:67], exec
	s_xor_b64 s[8:9], exec, -1
	s_and_b64 s[66:67], s[10:11], exec
	s_and_b64 s[64:65], s[70:71], exec
	;; [unrolled: 1-line block ×11, first 2 shown]
.LBB7_324:
	s_or_b64 exec, exec, s[62:63]
	s_and_b64 s[68:69], s[68:69], exec
	s_xor_b64 s[10:11], exec, -1
	s_and_b64 s[62:63], s[8:9], exec
	s_and_b64 s[66:67], s[66:67], exec
	;; [unrolled: 1-line block ×12, first 2 shown]
.LBB7_325:
	s_or_b64 exec, exec, s[60:61]
	s_and_b64 s[60:61], s[68:69], exec
	s_xor_b64 s[8:9], exec, -1
	s_and_b64 s[68:69], s[10:11], exec
	s_and_b64 s[62:63], s[62:63], exec
	;; [unrolled: 1-line block ×13, first 2 shown]
.LBB7_326:
	s_or_b64 exec, exec, s[58:59]
	s_and_b64 s[70:71], s[60:61], exec
	s_xor_b64 s[10:11], exec, -1
	s_and_b64 s[60:61], s[8:9], exec
	s_and_b64 s[58:59], s[68:69], exec
	;; [unrolled: 1-line block ×14, first 2 shown]
.LBB7_327:
	s_or_b64 exec, exec, s[56:57]
	s_and_b64 s[70:71], s[70:71], exec
	s_xor_b64 s[8:9], exec, -1
	s_and_b64 s[64:65], s[10:11], exec
	s_and_b64 s[60:61], s[60:61], exec
	;; [unrolled: 1-line block ×15, first 2 shown]
.LBB7_328:
	s_or_b64 exec, exec, s[54:55]
	s_and_b64 s[68:69], s[70:71], exec
	s_xor_b64 s[10:11], exec, -1
	s_and_b64 s[70:71], s[8:9], exec
	s_and_b64 s[64:65], s[64:65], exec
	;; [unrolled: 1-line block ×16, first 2 shown]
.LBB7_329:
	s_or_b64 exec, exec, s[52:53]
	s_and_b64 s[68:69], s[68:69], exec
	s_xor_b64 s[8:9], exec, -1
	s_and_b64 s[66:67], s[10:11], exec
	s_and_b64 s[70:71], s[70:71], exec
	;; [unrolled: 1-line block ×17, first 2 shown]
.LBB7_330:
	s_or_b64 exec, exec, s[50:51]
	s_and_b64 s[72:73], s[68:69], exec
	s_xor_b64 s[10:11], exec, -1
	s_and_b64 s[68:69], s[8:9], exec
	s_and_b64 s[66:67], s[66:67], exec
	;; [unrolled: 1-line block ×18, first 2 shown]
.LBB7_331:
	s_or_b64 exec, exec, s[48:49]
	s_and_b64 s[72:73], s[72:73], exec
	s_xor_b64 s[8:9], exec, -1
	s_and_b64 s[62:63], s[10:11], exec
	s_and_b64 s[70:71], s[68:69], exec
	;; [unrolled: 1-line block ×19, first 2 shown]
.LBB7_332:
	s_or_b64 exec, exec, s[46:47]
	s_and_b64 s[72:73], s[72:73], exec
	s_xor_b64 s[10:11], exec, -1
	s_and_b64 s[64:65], s[8:9], exec
	s_and_b64 s[62:63], s[62:63], exec
	;; [unrolled: 1-line block ×20, first 2 shown]
.LBB7_333:
	s_or_b64 exec, exec, s[44:45]
	s_and_b64 s[72:73], s[72:73], exec
	s_xor_b64 s[8:9], exec, -1
	s_and_b64 s[68:69], s[10:11], exec
	s_and_b64 s[64:65], s[64:65], exec
	;; [unrolled: 1-line block ×21, first 2 shown]
.LBB7_334:
	s_or_b64 exec, exec, s[42:43]
	s_and_b64 s[72:73], s[72:73], exec
	s_xor_b64 s[10:11], exec, -1
	s_and_b64 s[70:71], s[8:9], exec
	s_and_b64 s[68:69], s[68:69], exec
	;; [unrolled: 1-line block ×22, first 2 shown]
.LBB7_335:
	s_or_b64 exec, exec, s[40:41]
	s_and_b64 s[72:73], s[72:73], exec
	s_xor_b64 s[8:9], exec, -1
	s_and_b64 s[62:63], s[10:11], exec
	s_and_b64 s[60:61], s[70:71], exec
	;; [unrolled: 1-line block ×23, first 2 shown]
.LBB7_336:
	s_or_b64 exec, exec, s[38:39]
	s_and_b64 s[72:73], s[72:73], exec
	s_xor_b64 s[10:11], exec, -1
	s_and_b64 s[64:65], s[8:9], exec
	s_and_b64 s[62:63], s[62:63], exec
	;; [unrolled: 1-line block ×24, first 2 shown]
.LBB7_337:
	s_or_b64 exec, exec, s[36:37]
	s_and_b64 s[70:71], s[72:73], exec
	s_xor_b64 s[8:9], exec, -1
	s_and_b64 s[74:75], s[10:11], exec
	s_and_b64 s[64:65], s[64:65], exec
	;; [unrolled: 1-line block ×25, first 2 shown]
.LBB7_338:
	s_or_b64 exec, exec, s[34:35]
	s_and_b64 s[72:73], s[70:71], exec
	s_xor_b64 s[10:11], exec, -1
	s_and_b64 s[70:71], s[8:9], exec
	s_and_b64 s[66:67], s[74:75], exec
	;; [unrolled: 1-line block ×26, first 2 shown]
.LBB7_339:
	s_or_b64 exec, exec, s[28:29]
	s_and_b64 s[28:29], s[72:73], exec
	s_xor_b64 s[6:7], exec, -1
	s_and_b64 s[80:81], s[10:11], exec
	s_and_b64 s[78:79], s[70:71], exec
	;; [unrolled: 1-line block ×27, first 2 shown]
.LBB7_340:
	s_or_b64 exec, exec, s[26:27]
	s_and_b64 s[26:27], s[28:29], exec
	s_and_b64 s[28:29], s[6:7], exec
	;; [unrolled: 1-line block ×28, first 2 shown]
	s_orn2_b64 s[8:9], s[8:9], exec
.LBB7_341:
	v_readlane_b32 s4, v120, 4
	v_readlane_b32 s5, v120, 5
	s_or_b64 exec, exec, s[4:5]
	s_and_saveexec_b64 s[4:5], s[8:9]
	s_or_b64 exec, exec, s[4:5]
	s_and_saveexec_b64 s[4:5], s[6:7]
	s_xor_b64 s[84:85], exec, s[4:5]
	s_cbranch_execnz .LBB7_375
; %bb.342:
	s_or_b64 exec, exec, s[84:85]
	s_and_saveexec_b64 s[4:5], s[82:83]
	s_xor_b64 s[82:83], exec, s[4:5]
	s_cbranch_execnz .LBB7_376
.LBB7_343:
	s_or_b64 exec, exec, s[82:83]
	s_and_saveexec_b64 s[4:5], s[80:81]
	s_xor_b64 s[80:81], exec, s[4:5]
	s_cbranch_execnz .LBB7_377
.LBB7_344:
	s_or_b64 exec, exec, s[80:81]
	s_and_saveexec_b64 s[4:5], s[78:79]
	s_xor_b64 s[78:79], exec, s[4:5]
	s_cbranch_execnz .LBB7_378
.LBB7_345:
	s_or_b64 exec, exec, s[78:79]
	s_and_saveexec_b64 s[4:5], s[76:77]
	s_xor_b64 s[76:77], exec, s[4:5]
	s_cbranch_execnz .LBB7_379
.LBB7_346:
	s_or_b64 exec, exec, s[76:77]
	s_and_saveexec_b64 s[4:5], s[74:75]
	s_xor_b64 s[74:75], exec, s[4:5]
	s_cbranch_execnz .LBB7_380
.LBB7_347:
	s_or_b64 exec, exec, s[74:75]
	s_and_saveexec_b64 s[4:5], s[72:73]
	s_xor_b64 s[72:73], exec, s[4:5]
	s_cbranch_execnz .LBB7_381
.LBB7_348:
	s_or_b64 exec, exec, s[72:73]
	s_and_saveexec_b64 s[72:73], s[70:71]
	s_cbranch_execnz .LBB7_382
.LBB7_349:
	s_or_b64 exec, exec, s[72:73]
	s_and_saveexec_b64 s[4:5], s[66:67]
	s_xor_b64 s[66:67], exec, s[4:5]
	s_cbranch_execnz .LBB7_383
.LBB7_350:
	s_or_b64 exec, exec, s[66:67]
	s_and_saveexec_b64 s[66:67], s[68:69]
	s_cbranch_execnz .LBB7_384
.LBB7_351:
	s_or_b64 exec, exec, s[66:67]
	s_and_saveexec_b64 s[4:5], s[64:65]
	s_xor_b64 s[64:65], exec, s[4:5]
	s_cbranch_execnz .LBB7_742
.LBB7_352:
	s_or_b64 exec, exec, s[64:65]
	s_and_saveexec_b64 s[4:5], s[62:63]
	s_xor_b64 s[62:63], exec, s[4:5]
	s_cbranch_execnz .LBB7_743
.LBB7_353:
	s_or_b64 exec, exec, s[62:63]
	s_and_saveexec_b64 s[4:5], s[60:61]
	s_xor_b64 s[60:61], exec, s[4:5]
	s_cbranch_execz .LBB7_355
.LBB7_354:
	v_readlane_b32 s4, v120, 0
	v_readlane_b32 s5, v120, 1
	s_add_u32 s8, s4, 0x80
	s_addc_u32 s9, s5, 0
	s_getpc_b64 s[4:5]
	s_add_u32 s4, s4, .str.17@rel32@lo+4
	s_addc_u32 s5, s5, .str.17@rel32@hi+12
	s_getpc_b64 s[6:7]
	s_add_u32 s6, s6, .str.16@rel32@lo+4
	s_addc_u32 s7, s7, .str.16@rel32@hi+12
	s_getpc_b64 s[10:11]
	s_add_u32 s10, s10, __PRETTY_FUNCTION__._ZN3sop10minatoIsopEPKjiP7VecsMemIjLi8192EE@rel32@lo+4
	s_addc_u32 s11, s11, __PRETTY_FUNCTION__._ZN3sop10minatoIsopEPKjiP7VecsMemIjLi8192EE@rel32@hi+12
	v_mov_b32_e32 v0, s4
	v_mov_b32_e32 v1, s5
	;; [unrolled: 1-line block ×6, first 2 shown]
	s_waitcnt vmcnt(0)
	v_mov_b32_e32 v6, s11
	s_getpc_b64 s[12:13]
	s_add_u32 s12, s12, __assert_fail@rel32@lo+4
	s_addc_u32 s13, s13, __assert_fail@rel32@hi+12
	s_swappc_b64 s[30:31], s[12:13]
	s_or_b64 s[26:27], s[26:27], exec
.LBB7_355:
	s_or_b64 exec, exec, s[60:61]
	s_and_saveexec_b64 s[60:61], s[58:59]
	s_cbranch_execnz .LBB7_406
; %bb.356:
	s_or_b64 exec, exec, s[60:61]
	s_and_saveexec_b64 s[4:5], s[56:57]
	s_xor_b64 s[56:57], exec, s[4:5]
	s_cbranch_execnz .LBB7_772
.LBB7_357:
	s_or_b64 exec, exec, s[56:57]
	s_and_saveexec_b64 s[4:5], s[54:55]
	s_xor_b64 s[54:55], exec, s[4:5]
	s_cbranch_execz .LBB7_359
.LBB7_358:
	v_readlane_b32 s4, v120, 0
	v_readlane_b32 s5, v120, 1
	s_add_u32 s8, s4, 0x80
	s_addc_u32 s9, s5, 0
	s_getpc_b64 s[4:5]
	s_add_u32 s4, s4, .str.2@rel32@lo+4
	s_addc_u32 s5, s5, .str.2@rel32@hi+12
	s_getpc_b64 s[6:7]
	s_add_u32 s6, s6, .str.1@rel32@lo+4
	s_addc_u32 s7, s7, .str.1@rel32@hi+12
	s_getpc_b64 s[10:11]
	s_add_u32 s10, s10, __PRETTY_FUNCTION__._Z12evaluateSubgiPiPKiiiiS1_PKyPKjiPKN8subgUtil4SubgILi256EEE@rel32@lo+4
	s_addc_u32 s11, s11, __PRETTY_FUNCTION__._Z12evaluateSubgiPiPKiiiiS1_PKyPKjiPKN8subgUtil4SubgILi256EEE@rel32@hi+12
	v_mov_b32_e32 v0, s4
	v_mov_b32_e32 v1, s5
	;; [unrolled: 1-line block ×6, first 2 shown]
	s_waitcnt vmcnt(0)
	v_mov_b32_e32 v6, s11
	s_getpc_b64 s[12:13]
	s_add_u32 s12, s12, __assert_fail@rel32@lo+4
	s_addc_u32 s13, s13, __assert_fail@rel32@hi+12
	s_swappc_b64 s[30:31], s[12:13]
	s_or_b64 s[26:27], s[26:27], exec
.LBB7_359:
	s_or_b64 exec, exec, s[54:55]
	s_and_saveexec_b64 s[4:5], s[52:53]
	s_xor_b64 s[52:53], exec, s[4:5]
	s_cbranch_execz .LBB7_361
; %bb.360:
	v_readlane_b32 s4, v120, 0
	v_readlane_b32 s5, v120, 1
	s_add_u32 s8, s4, 0x80
	s_addc_u32 s9, s5, 0
	s_getpc_b64 s[4:5]
	s_add_u32 s4, s4, .str@rel32@lo+4
	s_addc_u32 s5, s5, .str@rel32@hi+12
	s_getpc_b64 s[6:7]
	s_add_u32 s6, s6, .str.1@rel32@lo+4
	s_addc_u32 s7, s7, .str.1@rel32@hi+12
	s_getpc_b64 s[10:11]
	s_add_u32 s10, s10, __PRETTY_FUNCTION__._Z12evaluateSubgiPiPKiiiiS1_PKyPKjiPKN8subgUtil4SubgILi256EEE@rel32@lo+4
	s_addc_u32 s11, s11, __PRETTY_FUNCTION__._Z12evaluateSubgiPiPKiiiiS1_PKyPKjiPKN8subgUtil4SubgILi256EEE@rel32@hi+12
	v_mov_b32_e32 v0, s4
	v_mov_b32_e32 v1, s5
	;; [unrolled: 1-line block ×6, first 2 shown]
	s_waitcnt vmcnt(0)
	v_mov_b32_e32 v6, s11
	s_getpc_b64 s[12:13]
	s_add_u32 s12, s12, __assert_fail@rel32@lo+4
	s_addc_u32 s13, s13, __assert_fail@rel32@hi+12
	s_swappc_b64 s[30:31], s[12:13]
	s_or_b64 s[26:27], s[26:27], exec
.LBB7_361:
	s_or_b64 exec, exec, s[52:53]
	s_and_saveexec_b64 s[4:5], s[50:51]
	s_xor_b64 s[50:51], exec, s[4:5]
	s_cbranch_execz .LBB7_363
; %bb.362:
	v_readlane_b32 s4, v120, 0
	v_readlane_b32 s5, v120, 1
	s_add_u32 s8, s4, 0x80
	s_addc_u32 s9, s5, 0
	s_getpc_b64 s[4:5]
	s_add_u32 s4, s4, .str.46@rel32@lo+4
	s_addc_u32 s5, s5, .str.46@rel32@hi+12
	s_getpc_b64 s[6:7]
	s_add_u32 s6, s6, .str.44@rel32@lo+4
	s_addc_u32 s7, s7, .str.44@rel32@hi+12
	s_getpc_b64 s[10:11]
	s_add_u32 s10, s10, __PRETTY_FUNCTION__._ZN8subgUtil18formAndNodeKeyFlagEiii@rel32@lo+4
	s_addc_u32 s11, s11, __PRETTY_FUNCTION__._ZN8subgUtil18formAndNodeKeyFlagEiii@rel32@hi+12
	v_mov_b32_e32 v0, s4
	v_mov_b32_e32 v1, s5
	;; [unrolled: 1-line block ×6, first 2 shown]
	s_waitcnt vmcnt(0)
	v_mov_b32_e32 v6, s11
	s_getpc_b64 s[12:13]
	s_add_u32 s12, s12, __assert_fail@rel32@lo+4
	s_addc_u32 s13, s13, __assert_fail@rel32@hi+12
	s_swappc_b64 s[30:31], s[12:13]
	s_or_b64 s[26:27], s[26:27], exec
.LBB7_363:
	s_or_b64 exec, exec, s[50:51]
	s_and_saveexec_b64 s[4:5], s[48:49]
	s_xor_b64 s[48:49], exec, s[4:5]
	s_cbranch_execz .LBB7_365
; %bb.364:
	v_readlane_b32 s4, v120, 0
	v_readlane_b32 s5, v120, 1
	s_add_u32 s8, s4, 0x80
	s_addc_u32 s9, s5, 0
	s_getpc_b64 s[4:5]
	s_add_u32 s4, s4, .str.32@rel32@lo+4
	s_addc_u32 s5, s5, .str.32@rel32@hi+12
	s_getpc_b64 s[6:7]
	s_add_u32 s6, s6, .str.31@rel32@lo+4
	s_addc_u32 s7, s7, .str.31@rel32@hi+12
	s_getpc_b64 s[10:11]
	s_add_u32 s10, s10, __PRETTY_FUNCTION__._ZN3sop9sopFactorEPjiiPKiiP7VecsMemIjLi8192EEPN8subgUtil4SubgILi256EEE@rel32@lo+4
	s_addc_u32 s11, s11, __PRETTY_FUNCTION__._ZN3sop9sopFactorEPjiiPKiiP7VecsMemIjLi8192EEPN8subgUtil4SubgILi256EEE@rel32@hi+12
	v_mov_b32_e32 v0, s4
	v_mov_b32_e32 v1, s5
	;; [unrolled: 1-line block ×6, first 2 shown]
	s_waitcnt vmcnt(0)
	v_mov_b32_e32 v6, s11
	s_getpc_b64 s[12:13]
	s_add_u32 s12, s12, __assert_fail@rel32@lo+4
	s_addc_u32 s13, s13, __assert_fail@rel32@hi+12
	s_swappc_b64 s[30:31], s[12:13]
	s_or_b64 s[26:27], s[26:27], exec
.LBB7_365:
	s_or_b64 exec, exec, s[48:49]
	s_and_saveexec_b64 s[48:49], s[46:47]
	s_cbranch_execnz .LBB7_428
; %bb.366:
	s_or_b64 exec, exec, s[48:49]
	s_and_saveexec_b64 s[4:5], s[44:45]
	s_xor_b64 s[44:45], exec, s[4:5]
	s_cbranch_execnz .LBB7_801
.LBB7_367:
	s_or_b64 exec, exec, s[44:45]
	s_and_saveexec_b64 s[44:45], s[42:43]
	s_cbranch_execnz .LBB7_802
.LBB7_368:
	s_or_b64 exec, exec, s[44:45]
	s_and_saveexec_b64 s[4:5], s[40:41]
	s_xor_b64 s[40:41], exec, s[4:5]
	s_cbranch_execnz .LBB7_803
.LBB7_369:
	s_or_b64 exec, exec, s[40:41]
	s_and_saveexec_b64 s[4:5], s[38:39]
	s_xor_b64 s[38:39], exec, s[4:5]
	s_cbranch_execnz .LBB7_804
.LBB7_370:
	s_or_b64 exec, exec, s[38:39]
	s_and_saveexec_b64 s[38:39], s[36:37]
	s_cbranch_execnz .LBB7_805
.LBB7_371:
	s_or_b64 exec, exec, s[38:39]
	s_and_saveexec_b64 s[4:5], s[34:35]
	s_xor_b64 s[34:35], exec, s[4:5]
	s_cbranch_execnz .LBB7_943
.LBB7_372:
	s_or_b64 exec, exec, s[34:35]
	s_and_saveexec_b64 s[34:35], s[28:29]
	s_cbranch_execnz .LBB7_944
.LBB7_373:
	s_or_b64 exec, exec, s[34:35]
	s_and_saveexec_b64 s[4:5], s[26:27]
	s_cbranch_execnz .LBB7_945
.LBB7_374:
	s_endpgm
.LBB7_375:
	v_readlane_b32 s4, v120, 0
	v_readlane_b32 s5, v120, 1
	s_add_u32 s8, s4, 0x80
	s_addc_u32 s9, s5, 0
	s_getpc_b64 s[4:5]
	s_add_u32 s4, s4, .str.11@rel32@lo+4
	s_addc_u32 s5, s5, .str.11@rel32@hi+12
	s_getpc_b64 s[6:7]
	s_add_u32 s6, s6, .str.1@rel32@lo+4
	s_addc_u32 s7, s7, .str.1@rel32@hi+12
	s_getpc_b64 s[10:11]
	s_add_u32 s10, s10, __PRETTY_FUNCTION__._Z8resynCutPKiS0_S0_S0_PKyPKjiS0_PyPiS6_S6_PjS0_S4_ii@rel32@lo+4
	s_addc_u32 s11, s11, __PRETTY_FUNCTION__._Z8resynCutPKiS0_S0_S0_PKyPKjiS0_PyPiS6_S6_PjS0_S4_ii@rel32@hi+12
	v_mov_b32_e32 v0, s4
	v_mov_b32_e32 v1, s5
	;; [unrolled: 1-line block ×6, first 2 shown]
	s_waitcnt vmcnt(0)
	v_mov_b32_e32 v6, s11
	s_getpc_b64 s[12:13]
	s_add_u32 s12, s12, __assert_fail@rel32@lo+4
	s_addc_u32 s13, s13, __assert_fail@rel32@hi+12
	s_swappc_b64 s[30:31], s[12:13]
	s_or_b64 s[26:27], s[26:27], exec
	s_or_b64 exec, exec, s[84:85]
	s_and_saveexec_b64 s[4:5], s[82:83]
	s_xor_b64 s[82:83], exec, s[4:5]
	s_cbranch_execz .LBB7_343
.LBB7_376:
	v_readlane_b32 s4, v120, 0
	v_readlane_b32 s5, v120, 1
	s_add_u32 s8, s4, 0x80
	s_addc_u32 s9, s5, 0
	s_getpc_b64 s[4:5]
	s_add_u32 s4, s4, .str.10@rel32@lo+4
	s_addc_u32 s5, s5, .str.10@rel32@hi+12
	s_getpc_b64 s[6:7]
	s_add_u32 s6, s6, .str.1@rel32@lo+4
	s_addc_u32 s7, s7, .str.1@rel32@hi+12
	s_getpc_b64 s[10:11]
	s_add_u32 s10, s10, __PRETTY_FUNCTION__._Z8resynCutPKiS0_S0_S0_PKyPKjiS0_PyPiS6_S6_PjS0_S4_ii@rel32@lo+4
	s_addc_u32 s11, s11, __PRETTY_FUNCTION__._Z8resynCutPKiS0_S0_S0_PKyPKjiS0_PyPiS6_S6_PjS0_S4_ii@rel32@hi+12
	v_mov_b32_e32 v0, s4
	v_mov_b32_e32 v1, s5
	;; [unrolled: 1-line block ×6, first 2 shown]
	s_waitcnt vmcnt(0)
	v_mov_b32_e32 v6, s11
	s_getpc_b64 s[12:13]
	s_add_u32 s12, s12, __assert_fail@rel32@lo+4
	s_addc_u32 s13, s13, __assert_fail@rel32@hi+12
	s_swappc_b64 s[30:31], s[12:13]
	s_or_b64 s[26:27], s[26:27], exec
	s_or_b64 exec, exec, s[82:83]
	s_and_saveexec_b64 s[4:5], s[80:81]
	s_xor_b64 s[80:81], exec, s[4:5]
	s_cbranch_execz .LBB7_344
.LBB7_377:
	v_readlane_b32 s4, v120, 0
	v_readlane_b32 s5, v120, 1
	s_add_u32 s8, s4, 0x80
	s_addc_u32 s9, s5, 0
	s_getpc_b64 s[4:5]
	s_add_u32 s4, s4, .str.9@rel32@lo+4
	s_addc_u32 s5, s5, .str.9@rel32@hi+12
	s_getpc_b64 s[6:7]
	s_add_u32 s6, s6, .str.1@rel32@lo+4
	s_addc_u32 s7, s7, .str.1@rel32@hi+12
	s_getpc_b64 s[10:11]
	s_add_u32 s10, s10, __PRETTY_FUNCTION__._Z8resynCutPKiS0_S0_S0_PKyPKjiS0_PyPiS6_S6_PjS0_S4_ii@rel32@lo+4
	s_addc_u32 s11, s11, __PRETTY_FUNCTION__._Z8resynCutPKiS0_S0_S0_PKyPKjiS0_PyPiS6_S6_PjS0_S4_ii@rel32@hi+12
	v_mov_b32_e32 v0, s4
	v_mov_b32_e32 v1, s5
	;; [unrolled: 1-line block ×6, first 2 shown]
	s_waitcnt vmcnt(0)
	v_mov_b32_e32 v6, s11
	s_getpc_b64 s[12:13]
	s_add_u32 s12, s12, __assert_fail@rel32@lo+4
	s_addc_u32 s13, s13, __assert_fail@rel32@hi+12
	s_swappc_b64 s[30:31], s[12:13]
	s_or_b64 s[26:27], s[26:27], exec
	s_or_b64 exec, exec, s[80:81]
	s_and_saveexec_b64 s[4:5], s[78:79]
	s_xor_b64 s[78:79], exec, s[4:5]
	s_cbranch_execz .LBB7_345
.LBB7_378:
	v_readlane_b32 s4, v120, 0
	v_readlane_b32 s5, v120, 1
	s_add_u32 s8, s4, 0x80
	s_addc_u32 s9, s5, 0
	s_getpc_b64 s[4:5]
	s_add_u32 s4, s4, .str.8@rel32@lo+4
	s_addc_u32 s5, s5, .str.8@rel32@hi+12
	s_getpc_b64 s[6:7]
	s_add_u32 s6, s6, .str.1@rel32@lo+4
	s_addc_u32 s7, s7, .str.1@rel32@hi+12
	s_getpc_b64 s[10:11]
	s_add_u32 s10, s10, __PRETTY_FUNCTION__._Z8resynCutPKiS0_S0_S0_PKyPKjiS0_PyPiS6_S6_PjS0_S4_ii@rel32@lo+4
	s_addc_u32 s11, s11, __PRETTY_FUNCTION__._Z8resynCutPKiS0_S0_S0_PKyPKjiS0_PyPiS6_S6_PjS0_S4_ii@rel32@hi+12
	v_mov_b32_e32 v0, s4
	v_mov_b32_e32 v1, s5
	;; [unrolled: 1-line block ×6, first 2 shown]
	s_waitcnt vmcnt(0)
	v_mov_b32_e32 v6, s11
	s_getpc_b64 s[12:13]
	s_add_u32 s12, s12, __assert_fail@rel32@lo+4
	s_addc_u32 s13, s13, __assert_fail@rel32@hi+12
	s_swappc_b64 s[30:31], s[12:13]
	s_or_b64 s[26:27], s[26:27], exec
	s_or_b64 exec, exec, s[78:79]
	s_and_saveexec_b64 s[4:5], s[76:77]
	s_xor_b64 s[76:77], exec, s[4:5]
	s_cbranch_execz .LBB7_346
.LBB7_379:
	v_readlane_b32 s4, v120, 0
	v_readlane_b32 s5, v120, 1
	s_add_u32 s8, s4, 0x80
	s_addc_u32 s9, s5, 0
	s_getpc_b64 s[4:5]
	s_add_u32 s4, s4, .str.2@rel32@lo+4
	s_addc_u32 s5, s5, .str.2@rel32@hi+12
	s_getpc_b64 s[6:7]
	s_add_u32 s6, s6, .str.1@rel32@lo+4
	s_addc_u32 s7, s7, .str.1@rel32@hi+12
	s_getpc_b64 s[10:11]
	s_add_u32 s10, s10, __PRETTY_FUNCTION__._Z12evaluateSubgiPiPKiiiiS1_PKyPKjiPKN8subgUtil4SubgILi256EEE@rel32@lo+4
	s_addc_u32 s11, s11, __PRETTY_FUNCTION__._Z12evaluateSubgiPiPKiiiiS1_PKyPKjiPKN8subgUtil4SubgILi256EEE@rel32@hi+12
	v_mov_b32_e32 v0, s4
	v_mov_b32_e32 v1, s5
	;; [unrolled: 1-line block ×6, first 2 shown]
	s_waitcnt vmcnt(0)
	v_mov_b32_e32 v6, s11
	s_getpc_b64 s[12:13]
	s_add_u32 s12, s12, __assert_fail@rel32@lo+4
	s_addc_u32 s13, s13, __assert_fail@rel32@hi+12
	s_swappc_b64 s[30:31], s[12:13]
	s_or_b64 s[26:27], s[26:27], exec
	s_or_b64 exec, exec, s[76:77]
	s_and_saveexec_b64 s[4:5], s[74:75]
	s_xor_b64 s[74:75], exec, s[4:5]
	s_cbranch_execz .LBB7_347
.LBB7_380:
	v_readlane_b32 s4, v120, 0
	v_readlane_b32 s5, v120, 1
	s_add_u32 s8, s4, 0x80
	s_addc_u32 s9, s5, 0
	s_getpc_b64 s[4:5]
	s_add_u32 s4, s4, .str@rel32@lo+4
	s_addc_u32 s5, s5, .str@rel32@hi+12
	s_getpc_b64 s[6:7]
	s_add_u32 s6, s6, .str.1@rel32@lo+4
	s_addc_u32 s7, s7, .str.1@rel32@hi+12
	s_getpc_b64 s[10:11]
	s_add_u32 s10, s10, __PRETTY_FUNCTION__._Z12evaluateSubgiPiPKiiiiS1_PKyPKjiPKN8subgUtil4SubgILi256EEE@rel32@lo+4
	s_addc_u32 s11, s11, __PRETTY_FUNCTION__._Z12evaluateSubgiPiPKiiiiS1_PKyPKjiPKN8subgUtil4SubgILi256EEE@rel32@hi+12
	v_mov_b32_e32 v0, s4
	v_mov_b32_e32 v1, s5
	;; [unrolled: 1-line block ×6, first 2 shown]
	s_waitcnt vmcnt(0)
	v_mov_b32_e32 v6, s11
	s_getpc_b64 s[12:13]
	s_add_u32 s12, s12, __assert_fail@rel32@lo+4
	s_addc_u32 s13, s13, __assert_fail@rel32@hi+12
	s_swappc_b64 s[30:31], s[12:13]
	s_or_b64 s[26:27], s[26:27], exec
	s_or_b64 exec, exec, s[74:75]
	s_and_saveexec_b64 s[4:5], s[72:73]
	s_xor_b64 s[72:73], exec, s[4:5]
	s_cbranch_execz .LBB7_348
.LBB7_381:
	v_readlane_b32 s4, v120, 0
	v_readlane_b32 s5, v120, 1
	s_add_u32 s8, s4, 0x80
	s_addc_u32 s9, s5, 0
	s_getpc_b64 s[4:5]
	s_add_u32 s4, s4, .str.46@rel32@lo+4
	s_addc_u32 s5, s5, .str.46@rel32@hi+12
	s_getpc_b64 s[6:7]
	s_add_u32 s6, s6, .str.44@rel32@lo+4
	s_addc_u32 s7, s7, .str.44@rel32@hi+12
	s_getpc_b64 s[10:11]
	s_add_u32 s10, s10, __PRETTY_FUNCTION__._ZN8subgUtil18formAndNodeKeyFlagEiii@rel32@lo+4
	s_addc_u32 s11, s11, __PRETTY_FUNCTION__._ZN8subgUtil18formAndNodeKeyFlagEiii@rel32@hi+12
	v_mov_b32_e32 v0, s4
	v_mov_b32_e32 v1, s5
	;; [unrolled: 1-line block ×6, first 2 shown]
	s_waitcnt vmcnt(0)
	v_mov_b32_e32 v6, s11
	s_getpc_b64 s[12:13]
	s_add_u32 s12, s12, __assert_fail@rel32@lo+4
	s_addc_u32 s13, s13, __assert_fail@rel32@hi+12
	s_swappc_b64 s[30:31], s[12:13]
	s_or_b64 s[26:27], s[26:27], exec
	s_or_b64 exec, exec, s[72:73]
	s_and_saveexec_b64 s[72:73], s[70:71]
	s_cbranch_execz .LBB7_349
.LBB7_382:
	v_readlane_b32 s4, v120, 0
	v_readlane_b32 s5, v120, 1
	s_add_u32 s8, s4, 0x80
	s_addc_u32 s9, s5, 0
	s_getpc_b64 s[4:5]
	s_add_u32 s4, s4, .str.32@rel32@lo+4
	s_addc_u32 s5, s5, .str.32@rel32@hi+12
	s_getpc_b64 s[6:7]
	s_add_u32 s6, s6, .str.31@rel32@lo+4
	s_addc_u32 s7, s7, .str.31@rel32@hi+12
	s_getpc_b64 s[10:11]
	s_add_u32 s10, s10, __PRETTY_FUNCTION__._ZN3sop9sopFactorEPjiiPKiiP7VecsMemIjLi8192EEPN8subgUtil4SubgILi256EEE@rel32@lo+4
	s_addc_u32 s11, s11, __PRETTY_FUNCTION__._ZN3sop9sopFactorEPjiiPKiiP7VecsMemIjLi8192EEPN8subgUtil4SubgILi256EEE@rel32@hi+12
	v_mov_b32_e32 v0, s4
	v_mov_b32_e32 v1, s5
	;; [unrolled: 1-line block ×6, first 2 shown]
	s_waitcnt vmcnt(0)
	v_mov_b32_e32 v6, s11
	s_getpc_b64 s[12:13]
	s_add_u32 s12, s12, __assert_fail@rel32@lo+4
	s_addc_u32 s13, s13, __assert_fail@rel32@hi+12
	s_swappc_b64 s[30:31], s[12:13]
	s_or_b64 s[26:27], s[26:27], exec
	s_or_b64 exec, exec, s[72:73]
	s_and_saveexec_b64 s[4:5], s[66:67]
	s_xor_b64 s[66:67], exec, s[4:5]
	s_cbranch_execz .LBB7_350
.LBB7_383:
	v_readlane_b32 s4, v120, 0
	v_readlane_b32 s5, v120, 1
	s_add_u32 s8, s4, 0x80
	s_addc_u32 s9, s5, 0
	s_getpc_b64 s[4:5]
	s_add_u32 s4, s4, .str.46@rel32@lo+4
	s_addc_u32 s5, s5, .str.46@rel32@hi+12
	s_getpc_b64 s[6:7]
	s_add_u32 s6, s6, .str.44@rel32@lo+4
	s_addc_u32 s7, s7, .str.44@rel32@hi+12
	s_getpc_b64 s[10:11]
	s_add_u32 s10, s10, __PRETTY_FUNCTION__._ZN8subgUtil18formAndNodeKeyFlagEiii@rel32@lo+4
	s_addc_u32 s11, s11, __PRETTY_FUNCTION__._ZN8subgUtil18formAndNodeKeyFlagEiii@rel32@hi+12
	v_mov_b32_e32 v0, s4
	v_mov_b32_e32 v1, s5
	;; [unrolled: 1-line block ×6, first 2 shown]
	s_waitcnt vmcnt(0)
	v_mov_b32_e32 v6, s11
	s_getpc_b64 s[12:13]
	s_add_u32 s12, s12, __assert_fail@rel32@lo+4
	s_addc_u32 s13, s13, __assert_fail@rel32@hi+12
	s_swappc_b64 s[30:31], s[12:13]
	s_or_b64 s[26:27], s[26:27], exec
	s_or_b64 exec, exec, s[66:67]
	s_and_saveexec_b64 s[66:67], s[68:69]
	s_cbranch_execz .LBB7_351
.LBB7_384:
	v_readlane_b32 s4, v120, 2
	v_readlane_b32 s5, v120, 3
	s_load_dwordx2 s[6:7], s[4:5], 0x50
	v_mbcnt_lo_u32_b32 v0, -1, 0
	v_mbcnt_hi_u32_b32 v31, -1, v0
	v_readfirstlane_b32 s4, v31
	v_cmp_eq_u32_e64 s[4:5], s4, v31
	s_waitcnt vmcnt(0)
	v_pk_mov_b32 v[6:7], 0, 0
	s_and_saveexec_b64 s[8:9], s[4:5]
	s_cbranch_execz .LBB7_390
; %bb.385:
	v_mov_b32_e32 v0, 0
	s_waitcnt lgkmcnt(0)
	global_load_dwordx2 v[4:5], v0, s[6:7] offset:24 glc
	s_waitcnt vmcnt(0)
	buffer_invl2
	buffer_wbinvl1_vol
	global_load_dwordx2 v[2:3], v0, s[6:7] offset:40
	global_load_dwordx2 v[6:7], v0, s[6:7]
	s_waitcnt vmcnt(1)
	v_and_b32_e32 v1, v2, v4
	v_and_b32_e32 v2, v3, v5
	v_mul_lo_u32 v2, v2, 24
	v_mul_hi_u32 v3, v1, 24
	v_mul_lo_u32 v1, v1, 24
	v_add_u32_e32 v3, v3, v2
	s_waitcnt vmcnt(0)
	v_add_co_u32_e32 v2, vcc, v6, v1
	v_addc_co_u32_e32 v3, vcc, v7, v3, vcc
	global_load_dwordx2 v[2:3], v[2:3], off glc
	s_waitcnt vmcnt(0)
	global_atomic_cmpswap_x2 v[6:7], v0, v[2:5], s[6:7] offset:24 glc
	s_waitcnt vmcnt(0)
	buffer_invl2
	buffer_wbinvl1_vol
	v_cmp_ne_u64_e32 vcc, v[6:7], v[4:5]
	s_and_saveexec_b64 s[10:11], vcc
	s_cbranch_execz .LBB7_389
; %bb.386:
	s_mov_b64 s[12:13], 0
.LBB7_387:                              ; =>This Inner Loop Header: Depth=1
	s_sleep 1
	global_load_dwordx2 v[2:3], v0, s[6:7] offset:40
	global_load_dwordx2 v[8:9], v0, s[6:7]
	v_pk_mov_b32 v[4:5], v[6:7], v[6:7] op_sel:[0,1]
	s_waitcnt vmcnt(1)
	v_and_b32_e32 v2, v2, v4
	v_and_b32_e32 v1, v3, v5
	s_waitcnt vmcnt(0)
	v_mad_u64_u32 v[2:3], s[14:15], v2, 24, v[8:9]
	v_mov_b32_e32 v6, v3
	v_mad_u64_u32 v[6:7], s[14:15], v1, 24, v[6:7]
	v_mov_b32_e32 v3, v6
	global_load_dwordx2 v[2:3], v[2:3], off glc
	s_waitcnt vmcnt(0)
	global_atomic_cmpswap_x2 v[6:7], v0, v[2:5], s[6:7] offset:24 glc
	s_waitcnt vmcnt(0)
	buffer_invl2
	buffer_wbinvl1_vol
	v_cmp_eq_u64_e32 vcc, v[6:7], v[4:5]
	s_or_b64 s[12:13], vcc, s[12:13]
	s_andn2_b64 exec, exec, s[12:13]
	s_cbranch_execnz .LBB7_387
; %bb.388:
	s_or_b64 exec, exec, s[12:13]
.LBB7_389:
	s_or_b64 exec, exec, s[10:11]
.LBB7_390:
	s_or_b64 exec, exec, s[8:9]
	v_mov_b32_e32 v5, 0
	s_waitcnt lgkmcnt(0)
	global_load_dwordx2 v[8:9], v5, s[6:7] offset:40
	global_load_dwordx4 v[0:3], v5, s[6:7]
	v_readfirstlane_b32 s8, v6
	v_readfirstlane_b32 s9, v7
	s_mov_b64 s[10:11], exec
	s_waitcnt vmcnt(1)
	v_readfirstlane_b32 s12, v8
	v_readfirstlane_b32 s13, v9
	s_and_b64 s[12:13], s[8:9], s[12:13]
	s_mul_i32 s14, s13, 24
	s_mul_hi_u32 s15, s12, 24
	s_mul_i32 s16, s12, 24
	s_add_i32 s14, s15, s14
	v_mov_b32_e32 v4, s14
	s_waitcnt vmcnt(0)
	v_add_co_u32_e32 v8, vcc, s16, v0
	v_addc_co_u32_e32 v9, vcc, v1, v4, vcc
	s_and_saveexec_b64 s[14:15], s[4:5]
	s_cbranch_execz .LBB7_392
; %bb.391:
	v_pk_mov_b32 v[10:11], s[10:11], s[10:11] op_sel:[0,1]
	v_mov_b32_e32 v12, 2
	v_mov_b32_e32 v13, 1
	global_store_dwordx4 v[8:9], v[10:13], off offset:8
.LBB7_392:
	s_or_b64 exec, exec, s[14:15]
	s_lshl_b64 s[10:11], s[12:13], 12
	v_mov_b32_e32 v4, s11
	v_add_co_u32_e32 v2, vcc, s10, v2
	v_addc_co_u32_e32 v3, vcc, v3, v4, vcc
	s_mov_b32 s12, 0
	v_lshlrev_b32_e32 v30, 6, v31
	v_add_co_u32_e32 v10, vcc, v2, v30
	v_mov_b32_e32 v4, 33
	v_mov_b32_e32 v6, v5
	;; [unrolled: 1-line block ×3, first 2 shown]
	v_readfirstlane_b32 s10, v2
	v_readfirstlane_b32 s11, v3
	s_mov_b32 s13, s12
	v_addc_co_u32_e32 v11, vcc, 0, v3, vcc
	s_mov_b32 s14, s12
	s_mov_b32 s15, s12
	s_nop 0
	global_store_dwordx4 v30, v[4:7], s[10:11]
	v_pk_mov_b32 v[2:3], s[12:13], s[12:13] op_sel:[0,1]
	v_pk_mov_b32 v[4:5], s[14:15], s[14:15] op_sel:[0,1]
	global_store_dwordx4 v30, v[2:5], s[10:11] offset:16
	global_store_dwordx4 v30, v[2:5], s[10:11] offset:32
	;; [unrolled: 1-line block ×3, first 2 shown]
	s_and_saveexec_b64 s[10:11], s[4:5]
	s_cbranch_execz .LBB7_400
; %bb.393:
	v_mov_b32_e32 v6, 0
	global_load_dwordx2 v[14:15], v6, s[6:7] offset:32 glc
	global_load_dwordx2 v[2:3], v6, s[6:7] offset:40
	v_mov_b32_e32 v12, s8
	v_mov_b32_e32 v13, s9
	s_waitcnt vmcnt(0)
	v_and_b32_e32 v2, s8, v2
	v_and_b32_e32 v3, s9, v3
	v_mul_lo_u32 v3, v3, 24
	v_mul_hi_u32 v4, v2, 24
	v_mul_lo_u32 v2, v2, 24
	v_add_u32_e32 v3, v4, v3
	v_add_co_u32_e32 v4, vcc, v0, v2
	v_addc_co_u32_e32 v5, vcc, v1, v3, vcc
	global_store_dwordx2 v[4:5], v[14:15], off
	buffer_wbl2
	s_waitcnt vmcnt(0)
	global_atomic_cmpswap_x2 v[2:3], v6, v[12:15], s[6:7] offset:32 glc
	s_waitcnt vmcnt(0)
	v_cmp_ne_u64_e32 vcc, v[2:3], v[14:15]
	s_and_saveexec_b64 s[12:13], vcc
	s_cbranch_execz .LBB7_396
; %bb.394:
	s_mov_b64 s[14:15], 0
.LBB7_395:                              ; =>This Inner Loop Header: Depth=1
	s_sleep 1
	global_store_dwordx2 v[4:5], v[2:3], off
	v_mov_b32_e32 v0, s8
	v_mov_b32_e32 v1, s9
	buffer_wbl2
	s_waitcnt vmcnt(0)
	global_atomic_cmpswap_x2 v[0:1], v6, v[0:3], s[6:7] offset:32 glc
	s_waitcnt vmcnt(0)
	v_cmp_eq_u64_e32 vcc, v[0:1], v[2:3]
	s_or_b64 s[14:15], vcc, s[14:15]
	v_pk_mov_b32 v[2:3], v[0:1], v[0:1] op_sel:[0,1]
	s_andn2_b64 exec, exec, s[14:15]
	s_cbranch_execnz .LBB7_395
.LBB7_396:
	s_or_b64 exec, exec, s[12:13]
	v_mov_b32_e32 v3, 0
	global_load_dwordx2 v[0:1], v3, s[6:7] offset:16
	s_mov_b64 s[12:13], exec
	v_mbcnt_lo_u32_b32 v2, s12, 0
	v_mbcnt_hi_u32_b32 v2, s13, v2
	v_cmp_eq_u32_e32 vcc, 0, v2
	s_and_saveexec_b64 s[14:15], vcc
	s_cbranch_execz .LBB7_398
; %bb.397:
	s_bcnt1_i32_b64 s12, s[12:13]
	v_mov_b32_e32 v2, s12
	buffer_wbl2
	s_waitcnt vmcnt(0)
	global_atomic_add_x2 v[0:1], v[2:3], off offset:8
.LBB7_398:
	s_or_b64 exec, exec, s[14:15]
	s_waitcnt vmcnt(0)
	global_load_dwordx2 v[2:3], v[0:1], off offset:16
	s_waitcnt vmcnt(0)
	v_cmp_eq_u64_e32 vcc, 0, v[2:3]
	s_cbranch_vccnz .LBB7_400
; %bb.399:
	global_load_dword v0, v[0:1], off offset:24
	v_mov_b32_e32 v1, 0
	buffer_wbl2
	s_waitcnt vmcnt(0)
	global_store_dwordx2 v[2:3], v[0:1], off
	v_and_b32_e32 v0, 0xffffff, v0
	v_readfirstlane_b32 m0, v0
	s_sendmsg sendmsg(MSG_INTERRUPT)
.LBB7_400:
	s_or_b64 exec, exec, s[10:11]
	s_branch .LBB7_404
.LBB7_401:                              ;   in Loop: Header=BB7_404 Depth=1
	s_or_b64 exec, exec, s[10:11]
	v_readfirstlane_b32 s10, v0
	s_cmp_eq_u32 s10, 0
	s_cbranch_scc1 .LBB7_403
; %bb.402:                              ;   in Loop: Header=BB7_404 Depth=1
	s_sleep 1
	s_cbranch_execnz .LBB7_404
	s_branch .LBB7_450
.LBB7_403:
	s_branch .LBB7_450
.LBB7_404:                              ; =>This Inner Loop Header: Depth=1
	v_mov_b32_e32 v0, 1
	s_and_saveexec_b64 s[10:11], s[4:5]
	s_cbranch_execz .LBB7_401
; %bb.405:                              ;   in Loop: Header=BB7_404 Depth=1
	global_load_dword v0, v[8:9], off offset:20 glc
	s_waitcnt vmcnt(0)
	buffer_invl2
	buffer_wbinvl1_vol
	v_and_b32_e32 v0, 1, v0
	s_branch .LBB7_401
.LBB7_406:
	v_readlane_b32 s4, v120, 2
	v_readlane_b32 s5, v120, 3
	s_load_dwordx2 s[6:7], s[4:5], 0x50
	v_mbcnt_lo_u32_b32 v0, -1, 0
	v_mbcnt_hi_u32_b32 v31, -1, v0
	v_readfirstlane_b32 s4, v31
	v_cmp_eq_u32_e64 s[4:5], s4, v31
	s_waitcnt vmcnt(0)
	v_pk_mov_b32 v[6:7], 0, 0
	s_and_saveexec_b64 s[8:9], s[4:5]
	s_cbranch_execz .LBB7_412
; %bb.407:
	v_mov_b32_e32 v0, 0
	s_waitcnt lgkmcnt(0)
	global_load_dwordx2 v[4:5], v0, s[6:7] offset:24 glc
	s_waitcnt vmcnt(0)
	buffer_invl2
	buffer_wbinvl1_vol
	global_load_dwordx2 v[2:3], v0, s[6:7] offset:40
	global_load_dwordx2 v[6:7], v0, s[6:7]
	s_waitcnt vmcnt(1)
	v_and_b32_e32 v1, v2, v4
	v_and_b32_e32 v2, v3, v5
	v_mul_lo_u32 v2, v2, 24
	v_mul_hi_u32 v3, v1, 24
	v_mul_lo_u32 v1, v1, 24
	v_add_u32_e32 v3, v3, v2
	s_waitcnt vmcnt(0)
	v_add_co_u32_e32 v2, vcc, v6, v1
	v_addc_co_u32_e32 v3, vcc, v7, v3, vcc
	global_load_dwordx2 v[2:3], v[2:3], off glc
	s_waitcnt vmcnt(0)
	global_atomic_cmpswap_x2 v[6:7], v0, v[2:5], s[6:7] offset:24 glc
	s_waitcnt vmcnt(0)
	buffer_invl2
	buffer_wbinvl1_vol
	v_cmp_ne_u64_e32 vcc, v[6:7], v[4:5]
	s_and_saveexec_b64 s[10:11], vcc
	s_cbranch_execz .LBB7_411
; %bb.408:
	s_mov_b64 s[12:13], 0
.LBB7_409:                              ; =>This Inner Loop Header: Depth=1
	s_sleep 1
	global_load_dwordx2 v[2:3], v0, s[6:7] offset:40
	global_load_dwordx2 v[8:9], v0, s[6:7]
	v_pk_mov_b32 v[4:5], v[6:7], v[6:7] op_sel:[0,1]
	s_waitcnt vmcnt(1)
	v_and_b32_e32 v2, v2, v4
	v_and_b32_e32 v1, v3, v5
	s_waitcnt vmcnt(0)
	v_mad_u64_u32 v[2:3], s[14:15], v2, 24, v[8:9]
	v_mov_b32_e32 v6, v3
	v_mad_u64_u32 v[6:7], s[14:15], v1, 24, v[6:7]
	v_mov_b32_e32 v3, v6
	global_load_dwordx2 v[2:3], v[2:3], off glc
	s_waitcnt vmcnt(0)
	global_atomic_cmpswap_x2 v[6:7], v0, v[2:5], s[6:7] offset:24 glc
	s_waitcnt vmcnt(0)
	buffer_invl2
	buffer_wbinvl1_vol
	v_cmp_eq_u64_e32 vcc, v[6:7], v[4:5]
	s_or_b64 s[12:13], vcc, s[12:13]
	s_andn2_b64 exec, exec, s[12:13]
	s_cbranch_execnz .LBB7_409
; %bb.410:
	s_or_b64 exec, exec, s[12:13]
.LBB7_411:
	s_or_b64 exec, exec, s[10:11]
.LBB7_412:
	s_or_b64 exec, exec, s[8:9]
	v_mov_b32_e32 v5, 0
	s_waitcnt lgkmcnt(0)
	global_load_dwordx2 v[8:9], v5, s[6:7] offset:40
	global_load_dwordx4 v[0:3], v5, s[6:7]
	v_readfirstlane_b32 s8, v6
	v_readfirstlane_b32 s9, v7
	s_mov_b64 s[10:11], exec
	s_waitcnt vmcnt(1)
	v_readfirstlane_b32 s12, v8
	v_readfirstlane_b32 s13, v9
	s_and_b64 s[12:13], s[8:9], s[12:13]
	s_mul_i32 s14, s13, 24
	s_mul_hi_u32 s15, s12, 24
	s_mul_i32 s16, s12, 24
	s_add_i32 s14, s15, s14
	v_mov_b32_e32 v4, s14
	s_waitcnt vmcnt(0)
	v_add_co_u32_e32 v8, vcc, s16, v0
	v_addc_co_u32_e32 v9, vcc, v1, v4, vcc
	s_and_saveexec_b64 s[14:15], s[4:5]
	s_cbranch_execz .LBB7_414
; %bb.413:
	v_pk_mov_b32 v[10:11], s[10:11], s[10:11] op_sel:[0,1]
	v_mov_b32_e32 v12, 2
	v_mov_b32_e32 v13, 1
	global_store_dwordx4 v[8:9], v[10:13], off offset:8
.LBB7_414:
	s_or_b64 exec, exec, s[14:15]
	s_lshl_b64 s[10:11], s[12:13], 12
	v_mov_b32_e32 v4, s11
	v_add_co_u32_e32 v2, vcc, s10, v2
	v_addc_co_u32_e32 v3, vcc, v3, v4, vcc
	s_mov_b32 s12, 0
	v_lshlrev_b32_e32 v30, 6, v31
	v_add_co_u32_e32 v10, vcc, v2, v30
	v_mov_b32_e32 v4, 33
	v_mov_b32_e32 v6, v5
	;; [unrolled: 1-line block ×3, first 2 shown]
	v_readfirstlane_b32 s10, v2
	v_readfirstlane_b32 s11, v3
	s_mov_b32 s13, s12
	v_addc_co_u32_e32 v11, vcc, 0, v3, vcc
	s_mov_b32 s14, s12
	s_mov_b32 s15, s12
	s_nop 0
	global_store_dwordx4 v30, v[4:7], s[10:11]
	v_pk_mov_b32 v[2:3], s[12:13], s[12:13] op_sel:[0,1]
	v_pk_mov_b32 v[4:5], s[14:15], s[14:15] op_sel:[0,1]
	global_store_dwordx4 v30, v[2:5], s[10:11] offset:16
	global_store_dwordx4 v30, v[2:5], s[10:11] offset:32
	;; [unrolled: 1-line block ×3, first 2 shown]
	s_and_saveexec_b64 s[10:11], s[4:5]
	s_cbranch_execz .LBB7_422
; %bb.415:
	v_mov_b32_e32 v6, 0
	global_load_dwordx2 v[14:15], v6, s[6:7] offset:32 glc
	global_load_dwordx2 v[2:3], v6, s[6:7] offset:40
	v_mov_b32_e32 v12, s8
	v_mov_b32_e32 v13, s9
	s_waitcnt vmcnt(0)
	v_and_b32_e32 v2, s8, v2
	v_and_b32_e32 v3, s9, v3
	v_mul_lo_u32 v3, v3, 24
	v_mul_hi_u32 v4, v2, 24
	v_mul_lo_u32 v2, v2, 24
	v_add_u32_e32 v3, v4, v3
	v_add_co_u32_e32 v4, vcc, v0, v2
	v_addc_co_u32_e32 v5, vcc, v1, v3, vcc
	global_store_dwordx2 v[4:5], v[14:15], off
	buffer_wbl2
	s_waitcnt vmcnt(0)
	global_atomic_cmpswap_x2 v[2:3], v6, v[12:15], s[6:7] offset:32 glc
	s_waitcnt vmcnt(0)
	v_cmp_ne_u64_e32 vcc, v[2:3], v[14:15]
	s_and_saveexec_b64 s[12:13], vcc
	s_cbranch_execz .LBB7_418
; %bb.416:
	s_mov_b64 s[14:15], 0
.LBB7_417:                              ; =>This Inner Loop Header: Depth=1
	s_sleep 1
	global_store_dwordx2 v[4:5], v[2:3], off
	v_mov_b32_e32 v0, s8
	v_mov_b32_e32 v1, s9
	buffer_wbl2
	s_waitcnt vmcnt(0)
	global_atomic_cmpswap_x2 v[0:1], v6, v[0:3], s[6:7] offset:32 glc
	s_waitcnt vmcnt(0)
	v_cmp_eq_u64_e32 vcc, v[0:1], v[2:3]
	s_or_b64 s[14:15], vcc, s[14:15]
	v_pk_mov_b32 v[2:3], v[0:1], v[0:1] op_sel:[0,1]
	s_andn2_b64 exec, exec, s[14:15]
	s_cbranch_execnz .LBB7_417
.LBB7_418:
	s_or_b64 exec, exec, s[12:13]
	v_mov_b32_e32 v3, 0
	global_load_dwordx2 v[0:1], v3, s[6:7] offset:16
	s_mov_b64 s[12:13], exec
	v_mbcnt_lo_u32_b32 v2, s12, 0
	v_mbcnt_hi_u32_b32 v2, s13, v2
	v_cmp_eq_u32_e32 vcc, 0, v2
	s_and_saveexec_b64 s[14:15], vcc
	s_cbranch_execz .LBB7_420
; %bb.419:
	s_bcnt1_i32_b64 s12, s[12:13]
	v_mov_b32_e32 v2, s12
	buffer_wbl2
	s_waitcnt vmcnt(0)
	global_atomic_add_x2 v[0:1], v[2:3], off offset:8
.LBB7_420:
	s_or_b64 exec, exec, s[14:15]
	s_waitcnt vmcnt(0)
	global_load_dwordx2 v[2:3], v[0:1], off offset:16
	s_waitcnt vmcnt(0)
	v_cmp_eq_u64_e32 vcc, 0, v[2:3]
	s_cbranch_vccnz .LBB7_422
; %bb.421:
	global_load_dword v0, v[0:1], off offset:24
	v_mov_b32_e32 v1, 0
	buffer_wbl2
	s_waitcnt vmcnt(0)
	global_store_dwordx2 v[2:3], v[0:1], off
	v_and_b32_e32 v0, 0xffffff, v0
	v_readfirstlane_b32 m0, v0
	s_sendmsg sendmsg(MSG_INTERRUPT)
.LBB7_422:
	s_or_b64 exec, exec, s[10:11]
	s_branch .LBB7_426
.LBB7_423:                              ;   in Loop: Header=BB7_426 Depth=1
	s_or_b64 exec, exec, s[10:11]
	v_readfirstlane_b32 s10, v0
	s_cmp_eq_u32 s10, 0
	s_cbranch_scc1 .LBB7_425
; %bb.424:                              ;   in Loop: Header=BB7_426 Depth=1
	s_sleep 1
	s_cbranch_execnz .LBB7_426
	s_branch .LBB7_537
.LBB7_425:
	s_branch .LBB7_537
.LBB7_426:                              ; =>This Inner Loop Header: Depth=1
	v_mov_b32_e32 v0, 1
	s_and_saveexec_b64 s[10:11], s[4:5]
	s_cbranch_execz .LBB7_423
; %bb.427:                              ;   in Loop: Header=BB7_426 Depth=1
	global_load_dword v0, v[8:9], off offset:20 glc
	s_waitcnt vmcnt(0)
	buffer_invl2
	buffer_wbinvl1_vol
	v_and_b32_e32 v0, 1, v0
	s_branch .LBB7_423
.LBB7_428:
	v_readlane_b32 s4, v120, 2
	v_readlane_b32 s5, v120, 3
	s_load_dwordx2 s[6:7], s[4:5], 0x50
	v_mbcnt_lo_u32_b32 v0, -1, 0
	v_mbcnt_hi_u32_b32 v31, -1, v0
	v_readfirstlane_b32 s4, v31
	v_cmp_eq_u32_e64 s[4:5], s4, v31
	s_waitcnt vmcnt(0)
	v_pk_mov_b32 v[6:7], 0, 0
	s_and_saveexec_b64 s[8:9], s[4:5]
	s_cbranch_execz .LBB7_434
; %bb.429:
	v_mov_b32_e32 v0, 0
	s_waitcnt lgkmcnt(0)
	global_load_dwordx2 v[4:5], v0, s[6:7] offset:24 glc
	s_waitcnt vmcnt(0)
	buffer_invl2
	buffer_wbinvl1_vol
	global_load_dwordx2 v[2:3], v0, s[6:7] offset:40
	global_load_dwordx2 v[6:7], v0, s[6:7]
	s_waitcnt vmcnt(1)
	v_and_b32_e32 v1, v2, v4
	v_and_b32_e32 v2, v3, v5
	v_mul_lo_u32 v2, v2, 24
	v_mul_hi_u32 v3, v1, 24
	v_mul_lo_u32 v1, v1, 24
	v_add_u32_e32 v3, v3, v2
	s_waitcnt vmcnt(0)
	v_add_co_u32_e32 v2, vcc, v6, v1
	v_addc_co_u32_e32 v3, vcc, v7, v3, vcc
	global_load_dwordx2 v[2:3], v[2:3], off glc
	s_waitcnt vmcnt(0)
	global_atomic_cmpswap_x2 v[6:7], v0, v[2:5], s[6:7] offset:24 glc
	s_waitcnt vmcnt(0)
	buffer_invl2
	buffer_wbinvl1_vol
	v_cmp_ne_u64_e32 vcc, v[6:7], v[4:5]
	s_and_saveexec_b64 s[10:11], vcc
	s_cbranch_execz .LBB7_433
; %bb.430:
	s_mov_b64 s[12:13], 0
.LBB7_431:                              ; =>This Inner Loop Header: Depth=1
	s_sleep 1
	global_load_dwordx2 v[2:3], v0, s[6:7] offset:40
	global_load_dwordx2 v[8:9], v0, s[6:7]
	v_pk_mov_b32 v[4:5], v[6:7], v[6:7] op_sel:[0,1]
	s_waitcnt vmcnt(1)
	v_and_b32_e32 v2, v2, v4
	v_and_b32_e32 v1, v3, v5
	s_waitcnt vmcnt(0)
	v_mad_u64_u32 v[2:3], s[14:15], v2, 24, v[8:9]
	v_mov_b32_e32 v6, v3
	v_mad_u64_u32 v[6:7], s[14:15], v1, 24, v[6:7]
	v_mov_b32_e32 v3, v6
	global_load_dwordx2 v[2:3], v[2:3], off glc
	s_waitcnt vmcnt(0)
	global_atomic_cmpswap_x2 v[6:7], v0, v[2:5], s[6:7] offset:24 glc
	s_waitcnt vmcnt(0)
	buffer_invl2
	buffer_wbinvl1_vol
	v_cmp_eq_u64_e32 vcc, v[6:7], v[4:5]
	s_or_b64 s[12:13], vcc, s[12:13]
	s_andn2_b64 exec, exec, s[12:13]
	s_cbranch_execnz .LBB7_431
; %bb.432:
	s_or_b64 exec, exec, s[12:13]
.LBB7_433:
	s_or_b64 exec, exec, s[10:11]
.LBB7_434:
	s_or_b64 exec, exec, s[8:9]
	v_mov_b32_e32 v5, 0
	s_waitcnt lgkmcnt(0)
	global_load_dwordx2 v[8:9], v5, s[6:7] offset:40
	global_load_dwordx4 v[0:3], v5, s[6:7]
	v_readfirstlane_b32 s8, v6
	v_readfirstlane_b32 s9, v7
	s_mov_b64 s[10:11], exec
	s_waitcnt vmcnt(1)
	v_readfirstlane_b32 s12, v8
	v_readfirstlane_b32 s13, v9
	s_and_b64 s[12:13], s[8:9], s[12:13]
	s_mul_i32 s14, s13, 24
	s_mul_hi_u32 s15, s12, 24
	s_mul_i32 s16, s12, 24
	s_add_i32 s14, s15, s14
	v_mov_b32_e32 v4, s14
	s_waitcnt vmcnt(0)
	v_add_co_u32_e32 v8, vcc, s16, v0
	v_addc_co_u32_e32 v9, vcc, v1, v4, vcc
	s_and_saveexec_b64 s[14:15], s[4:5]
	s_cbranch_execz .LBB7_436
; %bb.435:
	v_pk_mov_b32 v[10:11], s[10:11], s[10:11] op_sel:[0,1]
	v_mov_b32_e32 v12, 2
	v_mov_b32_e32 v13, 1
	global_store_dwordx4 v[8:9], v[10:13], off offset:8
.LBB7_436:
	s_or_b64 exec, exec, s[14:15]
	s_lshl_b64 s[10:11], s[12:13], 12
	v_mov_b32_e32 v4, s11
	v_add_co_u32_e32 v2, vcc, s10, v2
	v_addc_co_u32_e32 v3, vcc, v3, v4, vcc
	s_mov_b32 s12, 0
	v_lshlrev_b32_e32 v30, 6, v31
	v_add_co_u32_e32 v10, vcc, v2, v30
	v_mov_b32_e32 v4, 33
	v_mov_b32_e32 v6, v5
	;; [unrolled: 1-line block ×3, first 2 shown]
	v_readfirstlane_b32 s10, v2
	v_readfirstlane_b32 s11, v3
	s_mov_b32 s13, s12
	v_addc_co_u32_e32 v11, vcc, 0, v3, vcc
	s_mov_b32 s14, s12
	s_mov_b32 s15, s12
	s_nop 0
	global_store_dwordx4 v30, v[4:7], s[10:11]
	v_pk_mov_b32 v[2:3], s[12:13], s[12:13] op_sel:[0,1]
	v_pk_mov_b32 v[4:5], s[14:15], s[14:15] op_sel:[0,1]
	global_store_dwordx4 v30, v[2:5], s[10:11] offset:16
	global_store_dwordx4 v30, v[2:5], s[10:11] offset:32
	;; [unrolled: 1-line block ×3, first 2 shown]
	s_and_saveexec_b64 s[10:11], s[4:5]
	s_cbranch_execz .LBB7_444
; %bb.437:
	v_mov_b32_e32 v6, 0
	global_load_dwordx2 v[14:15], v6, s[6:7] offset:32 glc
	global_load_dwordx2 v[2:3], v6, s[6:7] offset:40
	v_mov_b32_e32 v12, s8
	v_mov_b32_e32 v13, s9
	s_waitcnt vmcnt(0)
	v_and_b32_e32 v2, s8, v2
	v_and_b32_e32 v3, s9, v3
	v_mul_lo_u32 v3, v3, 24
	v_mul_hi_u32 v4, v2, 24
	v_mul_lo_u32 v2, v2, 24
	v_add_u32_e32 v3, v4, v3
	v_add_co_u32_e32 v4, vcc, v0, v2
	v_addc_co_u32_e32 v5, vcc, v1, v3, vcc
	global_store_dwordx2 v[4:5], v[14:15], off
	buffer_wbl2
	s_waitcnt vmcnt(0)
	global_atomic_cmpswap_x2 v[2:3], v6, v[12:15], s[6:7] offset:32 glc
	s_waitcnt vmcnt(0)
	v_cmp_ne_u64_e32 vcc, v[2:3], v[14:15]
	s_and_saveexec_b64 s[12:13], vcc
	s_cbranch_execz .LBB7_440
; %bb.438:
	s_mov_b64 s[14:15], 0
.LBB7_439:                              ; =>This Inner Loop Header: Depth=1
	s_sleep 1
	global_store_dwordx2 v[4:5], v[2:3], off
	v_mov_b32_e32 v0, s8
	v_mov_b32_e32 v1, s9
	buffer_wbl2
	s_waitcnt vmcnt(0)
	global_atomic_cmpswap_x2 v[0:1], v6, v[0:3], s[6:7] offset:32 glc
	s_waitcnt vmcnt(0)
	v_cmp_eq_u64_e32 vcc, v[0:1], v[2:3]
	s_or_b64 s[14:15], vcc, s[14:15]
	v_pk_mov_b32 v[2:3], v[0:1], v[0:1] op_sel:[0,1]
	s_andn2_b64 exec, exec, s[14:15]
	s_cbranch_execnz .LBB7_439
.LBB7_440:
	s_or_b64 exec, exec, s[12:13]
	v_mov_b32_e32 v3, 0
	global_load_dwordx2 v[0:1], v3, s[6:7] offset:16
	s_mov_b64 s[12:13], exec
	v_mbcnt_lo_u32_b32 v2, s12, 0
	v_mbcnt_hi_u32_b32 v2, s13, v2
	v_cmp_eq_u32_e32 vcc, 0, v2
	s_and_saveexec_b64 s[14:15], vcc
	s_cbranch_execz .LBB7_442
; %bb.441:
	s_bcnt1_i32_b64 s12, s[12:13]
	v_mov_b32_e32 v2, s12
	buffer_wbl2
	s_waitcnt vmcnt(0)
	global_atomic_add_x2 v[0:1], v[2:3], off offset:8
.LBB7_442:
	s_or_b64 exec, exec, s[14:15]
	s_waitcnt vmcnt(0)
	global_load_dwordx2 v[2:3], v[0:1], off offset:16
	s_waitcnt vmcnt(0)
	v_cmp_eq_u64_e32 vcc, 0, v[2:3]
	s_cbranch_vccnz .LBB7_444
; %bb.443:
	global_load_dword v0, v[0:1], off offset:24
	v_mov_b32_e32 v1, 0
	buffer_wbl2
	s_waitcnt vmcnt(0)
	global_store_dwordx2 v[2:3], v[0:1], off
	v_and_b32_e32 v0, 0xffffff, v0
	v_readfirstlane_b32 m0, v0
	s_sendmsg sendmsg(MSG_INTERRUPT)
.LBB7_444:
	s_or_b64 exec, exec, s[10:11]
	s_branch .LBB7_448
.LBB7_445:                              ;   in Loop: Header=BB7_448 Depth=1
	s_or_b64 exec, exec, s[10:11]
	v_readfirstlane_b32 s10, v0
	s_cmp_eq_u32 s10, 0
	s_cbranch_scc1 .LBB7_447
; %bb.446:                              ;   in Loop: Header=BB7_448 Depth=1
	s_sleep 1
	s_cbranch_execnz .LBB7_448
	s_branch .LBB7_624
.LBB7_447:
	s_branch .LBB7_624
.LBB7_448:                              ; =>This Inner Loop Header: Depth=1
	v_mov_b32_e32 v0, 1
	s_and_saveexec_b64 s[10:11], s[4:5]
	s_cbranch_execz .LBB7_445
; %bb.449:                              ;   in Loop: Header=BB7_448 Depth=1
	global_load_dword v0, v[8:9], off offset:20 glc
	s_waitcnt vmcnt(0)
	buffer_invl2
	buffer_wbinvl1_vol
	v_and_b32_e32 v0, 1, v0
	s_branch .LBB7_445
.LBB7_450:
	global_load_dwordx2 v[0:1], v[10:11], off
	s_and_saveexec_b64 s[10:11], s[4:5]
	s_cbranch_execz .LBB7_453
; %bb.451:
	v_mov_b32_e32 v8, 0
	global_load_dwordx2 v[6:7], v8, s[6:7] offset:40
	global_load_dwordx2 v[10:11], v8, s[6:7] offset:24 glc
	global_load_dwordx2 v[12:13], v8, s[6:7]
	v_mov_b32_e32 v3, s9
	s_mov_b64 s[4:5], 0
	s_waitcnt vmcnt(2)
	v_add_co_u32_e32 v5, vcc, 1, v6
	v_addc_co_u32_e32 v9, vcc, 0, v7, vcc
	v_add_co_u32_e32 v2, vcc, s8, v5
	v_addc_co_u32_e32 v3, vcc, v9, v3, vcc
	v_cmp_eq_u64_e32 vcc, 0, v[2:3]
	v_cndmask_b32_e32 v3, v3, v9, vcc
	v_cndmask_b32_e32 v2, v2, v5, vcc
	v_and_b32_e32 v5, v3, v7
	v_and_b32_e32 v6, v2, v6
	v_mul_lo_u32 v5, v5, 24
	v_mul_hi_u32 v7, v6, 24
	v_mul_lo_u32 v6, v6, 24
	v_add_u32_e32 v5, v7, v5
	s_waitcnt vmcnt(0)
	v_add_co_u32_e32 v6, vcc, v12, v6
	v_addc_co_u32_e32 v7, vcc, v13, v5, vcc
	v_mov_b32_e32 v4, v10
	global_store_dwordx2 v[6:7], v[10:11], off
	v_mov_b32_e32 v5, v11
	buffer_wbl2
	s_waitcnt vmcnt(0)
	global_atomic_cmpswap_x2 v[4:5], v8, v[2:5], s[6:7] offset:24 glc
	s_waitcnt vmcnt(0)
	v_cmp_ne_u64_e32 vcc, v[4:5], v[10:11]
	s_and_b64 exec, exec, vcc
	s_cbranch_execz .LBB7_453
.LBB7_452:                              ; =>This Inner Loop Header: Depth=1
	s_sleep 1
	global_store_dwordx2 v[6:7], v[4:5], off
	buffer_wbl2
	s_waitcnt vmcnt(0)
	global_atomic_cmpswap_x2 v[10:11], v8, v[2:5], s[6:7] offset:24 glc
	s_waitcnt vmcnt(0)
	v_cmp_eq_u64_e32 vcc, v[10:11], v[4:5]
	s_or_b64 s[4:5], vcc, s[4:5]
	v_pk_mov_b32 v[4:5], v[10:11], v[10:11] op_sel:[0,1]
	s_andn2_b64 exec, exec, s[4:5]
	s_cbranch_execnz .LBB7_452
.LBB7_453:
	s_or_b64 exec, exec, s[10:11]
	s_getpc_b64 s[8:9]
	s_add_u32 s8, s8, .str.28@rel32@lo+4
	s_addc_u32 s9, s9, .str.28@rel32@hi+12
	s_cmp_lg_u64 s[8:9], 0
	s_cbranch_scc0 .LBB7_714
; %bb.454:
	s_waitcnt vmcnt(0)
	v_and_b32_e32 v6, -3, v0
	v_mov_b32_e32 v7, v1
	s_mov_b64 s[10:11], 35
	v_mov_b32_e32 v27, 0
	v_mov_b32_e32 v4, 2
	;; [unrolled: 1-line block ×3, first 2 shown]
	s_branch .LBB7_456
.LBB7_455:                              ;   in Loop: Header=BB7_456 Depth=1
	s_or_b64 exec, exec, s[16:17]
	s_sub_u32 s10, s10, s12
	s_subb_u32 s11, s11, s13
	s_add_u32 s8, s8, s12
	s_addc_u32 s9, s9, s13
	s_cmp_lg_u64 s[10:11], 0
	s_cbranch_scc0 .LBB7_711
.LBB7_456:                              ; =>This Loop Header: Depth=1
                                        ;     Child Loop BB7_459 Depth 2
                                        ;     Child Loop BB7_466 Depth 2
	;; [unrolled: 1-line block ×11, first 2 shown]
	v_cmp_lt_u64_e64 s[4:5], s[10:11], 56
	s_and_b64 s[4:5], s[4:5], exec
	v_cmp_gt_u64_e64 s[4:5], s[10:11], 7
	s_cselect_b32 s13, s11, 0
	s_cselect_b32 s12, s10, 56
	s_and_b64 vcc, exec, s[4:5]
	s_cbranch_vccnz .LBB7_461
; %bb.457:                              ;   in Loop: Header=BB7_456 Depth=1
	s_mov_b64 s[4:5], 0
	s_cmp_eq_u64 s[10:11], 0
	s_waitcnt vmcnt(0)
	v_pk_mov_b32 v[8:9], 0, 0
	s_cbranch_scc1 .LBB7_460
; %bb.458:                              ;   in Loop: Header=BB7_456 Depth=1
	s_lshl_b64 s[14:15], s[12:13], 3
	s_mov_b64 s[16:17], 0
	v_pk_mov_b32 v[8:9], 0, 0
	s_mov_b64 s[18:19], s[8:9]
.LBB7_459:                              ;   Parent Loop BB7_456 Depth=1
                                        ; =>  This Inner Loop Header: Depth=2
	global_load_ubyte v2, v27, s[18:19]
	s_waitcnt vmcnt(0)
	v_and_b32_e32 v26, 0xffff, v2
	v_lshlrev_b64 v[2:3], s16, v[26:27]
	s_add_u32 s16, s16, 8
	s_addc_u32 s17, s17, 0
	s_add_u32 s18, s18, 1
	s_addc_u32 s19, s19, 0
	v_or_b32_e32 v8, v2, v8
	s_cmp_lg_u32 s14, s16
	v_or_b32_e32 v9, v3, v9
	s_cbranch_scc1 .LBB7_459
.LBB7_460:                              ;   in Loop: Header=BB7_456 Depth=1
	s_mov_b32 s18, 0
	s_andn2_b64 vcc, exec, s[4:5]
	s_mov_b64 s[4:5], s[8:9]
	s_cbranch_vccz .LBB7_462
	s_branch .LBB7_463
.LBB7_461:                              ;   in Loop: Header=BB7_456 Depth=1
                                        ; implicit-def: $sgpr18
	s_mov_b64 s[4:5], s[8:9]
.LBB7_462:                              ;   in Loop: Header=BB7_456 Depth=1
	global_load_dwordx2 v[8:9], v27, s[8:9]
	s_add_i32 s18, s12, -8
	s_add_u32 s4, s8, 8
	s_addc_u32 s5, s9, 0
.LBB7_463:                              ;   in Loop: Header=BB7_456 Depth=1
	s_cmp_gt_u32 s18, 7
	s_cbranch_scc1 .LBB7_467
; %bb.464:                              ;   in Loop: Header=BB7_456 Depth=1
	s_cmp_eq_u32 s18, 0
	s_cbranch_scc1 .LBB7_468
; %bb.465:                              ;   in Loop: Header=BB7_456 Depth=1
	s_mov_b64 s[14:15], 0
	v_pk_mov_b32 v[10:11], 0, 0
	s_mov_b64 s[16:17], 0
.LBB7_466:                              ;   Parent Loop BB7_456 Depth=1
                                        ; =>  This Inner Loop Header: Depth=2
	s_add_u32 s20, s4, s16
	s_addc_u32 s21, s5, s17
	global_load_ubyte v2, v27, s[20:21]
	s_add_u32 s16, s16, 1
	s_addc_u32 s17, s17, 0
	s_waitcnt vmcnt(0)
	v_and_b32_e32 v26, 0xffff, v2
	v_lshlrev_b64 v[2:3], s14, v[26:27]
	s_add_u32 s14, s14, 8
	s_addc_u32 s15, s15, 0
	v_or_b32_e32 v10, v2, v10
	s_cmp_lg_u32 s18, s16
	v_or_b32_e32 v11, v3, v11
	s_cbranch_scc1 .LBB7_466
	s_branch .LBB7_469
.LBB7_467:                              ;   in Loop: Header=BB7_456 Depth=1
                                        ; implicit-def: $vgpr10_vgpr11
                                        ; implicit-def: $sgpr19
	s_branch .LBB7_470
.LBB7_468:                              ;   in Loop: Header=BB7_456 Depth=1
	v_pk_mov_b32 v[10:11], 0, 0
.LBB7_469:                              ;   in Loop: Header=BB7_456 Depth=1
	s_mov_b32 s19, 0
	s_cbranch_execnz .LBB7_471
.LBB7_470:                              ;   in Loop: Header=BB7_456 Depth=1
	global_load_dwordx2 v[10:11], v27, s[4:5]
	s_add_i32 s19, s18, -8
	s_add_u32 s4, s4, 8
	s_addc_u32 s5, s5, 0
.LBB7_471:                              ;   in Loop: Header=BB7_456 Depth=1
	s_cmp_gt_u32 s19, 7
	s_cbranch_scc1 .LBB7_475
; %bb.472:                              ;   in Loop: Header=BB7_456 Depth=1
	s_cmp_eq_u32 s19, 0
	s_cbranch_scc1 .LBB7_476
; %bb.473:                              ;   in Loop: Header=BB7_456 Depth=1
	s_mov_b64 s[14:15], 0
	v_pk_mov_b32 v[12:13], 0, 0
	s_mov_b64 s[16:17], 0
.LBB7_474:                              ;   Parent Loop BB7_456 Depth=1
                                        ; =>  This Inner Loop Header: Depth=2
	s_add_u32 s20, s4, s16
	s_addc_u32 s21, s5, s17
	global_load_ubyte v2, v27, s[20:21]
	s_add_u32 s16, s16, 1
	s_addc_u32 s17, s17, 0
	s_waitcnt vmcnt(0)
	v_and_b32_e32 v26, 0xffff, v2
	v_lshlrev_b64 v[2:3], s14, v[26:27]
	s_add_u32 s14, s14, 8
	s_addc_u32 s15, s15, 0
	v_or_b32_e32 v12, v2, v12
	s_cmp_lg_u32 s19, s16
	v_or_b32_e32 v13, v3, v13
	s_cbranch_scc1 .LBB7_474
	s_branch .LBB7_477
.LBB7_475:                              ;   in Loop: Header=BB7_456 Depth=1
                                        ; implicit-def: $sgpr18
	s_branch .LBB7_478
.LBB7_476:                              ;   in Loop: Header=BB7_456 Depth=1
	v_pk_mov_b32 v[12:13], 0, 0
.LBB7_477:                              ;   in Loop: Header=BB7_456 Depth=1
	s_mov_b32 s18, 0
	s_cbranch_execnz .LBB7_479
.LBB7_478:                              ;   in Loop: Header=BB7_456 Depth=1
	global_load_dwordx2 v[12:13], v27, s[4:5]
	s_add_i32 s18, s19, -8
	s_add_u32 s4, s4, 8
	s_addc_u32 s5, s5, 0
.LBB7_479:                              ;   in Loop: Header=BB7_456 Depth=1
	s_cmp_gt_u32 s18, 7
	s_cbranch_scc1 .LBB7_483
; %bb.480:                              ;   in Loop: Header=BB7_456 Depth=1
	s_cmp_eq_u32 s18, 0
	s_cbranch_scc1 .LBB7_484
; %bb.481:                              ;   in Loop: Header=BB7_456 Depth=1
	s_mov_b64 s[14:15], 0
	v_pk_mov_b32 v[14:15], 0, 0
	s_mov_b64 s[16:17], 0
.LBB7_482:                              ;   Parent Loop BB7_456 Depth=1
                                        ; =>  This Inner Loop Header: Depth=2
	s_add_u32 s20, s4, s16
	s_addc_u32 s21, s5, s17
	global_load_ubyte v2, v27, s[20:21]
	s_add_u32 s16, s16, 1
	s_addc_u32 s17, s17, 0
	s_waitcnt vmcnt(0)
	v_and_b32_e32 v26, 0xffff, v2
	v_lshlrev_b64 v[2:3], s14, v[26:27]
	s_add_u32 s14, s14, 8
	s_addc_u32 s15, s15, 0
	v_or_b32_e32 v14, v2, v14
	s_cmp_lg_u32 s18, s16
	v_or_b32_e32 v15, v3, v15
	s_cbranch_scc1 .LBB7_482
	s_branch .LBB7_485
.LBB7_483:                              ;   in Loop: Header=BB7_456 Depth=1
                                        ; implicit-def: $vgpr14_vgpr15
                                        ; implicit-def: $sgpr19
	s_branch .LBB7_486
.LBB7_484:                              ;   in Loop: Header=BB7_456 Depth=1
	v_pk_mov_b32 v[14:15], 0, 0
.LBB7_485:                              ;   in Loop: Header=BB7_456 Depth=1
	s_mov_b32 s19, 0
	s_cbranch_execnz .LBB7_487
.LBB7_486:                              ;   in Loop: Header=BB7_456 Depth=1
	global_load_dwordx2 v[14:15], v27, s[4:5]
	s_add_i32 s19, s18, -8
	s_add_u32 s4, s4, 8
	s_addc_u32 s5, s5, 0
.LBB7_487:                              ;   in Loop: Header=BB7_456 Depth=1
	s_cmp_gt_u32 s19, 7
	s_cbranch_scc1 .LBB7_491
; %bb.488:                              ;   in Loop: Header=BB7_456 Depth=1
	s_cmp_eq_u32 s19, 0
	s_cbranch_scc1 .LBB7_492
; %bb.489:                              ;   in Loop: Header=BB7_456 Depth=1
	s_mov_b64 s[14:15], 0
	v_pk_mov_b32 v[16:17], 0, 0
	s_mov_b64 s[16:17], 0
.LBB7_490:                              ;   Parent Loop BB7_456 Depth=1
                                        ; =>  This Inner Loop Header: Depth=2
	s_add_u32 s20, s4, s16
	s_addc_u32 s21, s5, s17
	global_load_ubyte v2, v27, s[20:21]
	s_add_u32 s16, s16, 1
	s_addc_u32 s17, s17, 0
	s_waitcnt vmcnt(0)
	v_and_b32_e32 v26, 0xffff, v2
	v_lshlrev_b64 v[2:3], s14, v[26:27]
	s_add_u32 s14, s14, 8
	s_addc_u32 s15, s15, 0
	v_or_b32_e32 v16, v2, v16
	s_cmp_lg_u32 s19, s16
	v_or_b32_e32 v17, v3, v17
	s_cbranch_scc1 .LBB7_490
	s_branch .LBB7_493
.LBB7_491:                              ;   in Loop: Header=BB7_456 Depth=1
                                        ; implicit-def: $sgpr18
	s_branch .LBB7_494
.LBB7_492:                              ;   in Loop: Header=BB7_456 Depth=1
	v_pk_mov_b32 v[16:17], 0, 0
.LBB7_493:                              ;   in Loop: Header=BB7_456 Depth=1
	s_mov_b32 s18, 0
	s_cbranch_execnz .LBB7_495
.LBB7_494:                              ;   in Loop: Header=BB7_456 Depth=1
	global_load_dwordx2 v[16:17], v27, s[4:5]
	s_add_i32 s18, s19, -8
	s_add_u32 s4, s4, 8
	s_addc_u32 s5, s5, 0
.LBB7_495:                              ;   in Loop: Header=BB7_456 Depth=1
	s_cmp_gt_u32 s18, 7
	s_cbranch_scc1 .LBB7_499
; %bb.496:                              ;   in Loop: Header=BB7_456 Depth=1
	s_cmp_eq_u32 s18, 0
	s_cbranch_scc1 .LBB7_500
; %bb.497:                              ;   in Loop: Header=BB7_456 Depth=1
	s_mov_b64 s[14:15], 0
	v_pk_mov_b32 v[18:19], 0, 0
	s_mov_b64 s[16:17], 0
.LBB7_498:                              ;   Parent Loop BB7_456 Depth=1
                                        ; =>  This Inner Loop Header: Depth=2
	s_add_u32 s20, s4, s16
	s_addc_u32 s21, s5, s17
	global_load_ubyte v2, v27, s[20:21]
	s_add_u32 s16, s16, 1
	s_addc_u32 s17, s17, 0
	s_waitcnt vmcnt(0)
	v_and_b32_e32 v26, 0xffff, v2
	v_lshlrev_b64 v[2:3], s14, v[26:27]
	s_add_u32 s14, s14, 8
	s_addc_u32 s15, s15, 0
	v_or_b32_e32 v18, v2, v18
	s_cmp_lg_u32 s18, s16
	v_or_b32_e32 v19, v3, v19
	s_cbranch_scc1 .LBB7_498
	s_branch .LBB7_501
.LBB7_499:                              ;   in Loop: Header=BB7_456 Depth=1
                                        ; implicit-def: $vgpr18_vgpr19
                                        ; implicit-def: $sgpr19
	s_branch .LBB7_502
.LBB7_500:                              ;   in Loop: Header=BB7_456 Depth=1
	v_pk_mov_b32 v[18:19], 0, 0
.LBB7_501:                              ;   in Loop: Header=BB7_456 Depth=1
	s_mov_b32 s19, 0
	s_cbranch_execnz .LBB7_503
.LBB7_502:                              ;   in Loop: Header=BB7_456 Depth=1
	global_load_dwordx2 v[18:19], v27, s[4:5]
	s_add_i32 s19, s18, -8
	s_add_u32 s4, s4, 8
	s_addc_u32 s5, s5, 0
.LBB7_503:                              ;   in Loop: Header=BB7_456 Depth=1
	s_cmp_gt_u32 s19, 7
	s_cbranch_scc1 .LBB7_507
; %bb.504:                              ;   in Loop: Header=BB7_456 Depth=1
	s_cmp_eq_u32 s19, 0
	s_cbranch_scc1 .LBB7_508
; %bb.505:                              ;   in Loop: Header=BB7_456 Depth=1
	s_mov_b64 s[14:15], 0
	v_pk_mov_b32 v[20:21], 0, 0
	s_mov_b64 s[16:17], s[4:5]
.LBB7_506:                              ;   Parent Loop BB7_456 Depth=1
                                        ; =>  This Inner Loop Header: Depth=2
	global_load_ubyte v2, v27, s[16:17]
	s_add_i32 s19, s19, -1
	s_waitcnt vmcnt(0)
	v_and_b32_e32 v26, 0xffff, v2
	v_lshlrev_b64 v[2:3], s14, v[26:27]
	s_add_u32 s14, s14, 8
	s_addc_u32 s15, s15, 0
	s_add_u32 s16, s16, 1
	s_addc_u32 s17, s17, 0
	v_or_b32_e32 v20, v2, v20
	s_cmp_lg_u32 s19, 0
	v_or_b32_e32 v21, v3, v21
	s_cbranch_scc1 .LBB7_506
	s_branch .LBB7_509
.LBB7_507:                              ;   in Loop: Header=BB7_456 Depth=1
	s_branch .LBB7_510
.LBB7_508:                              ;   in Loop: Header=BB7_456 Depth=1
	v_pk_mov_b32 v[20:21], 0, 0
.LBB7_509:                              ;   in Loop: Header=BB7_456 Depth=1
	s_cbranch_execnz .LBB7_511
.LBB7_510:                              ;   in Loop: Header=BB7_456 Depth=1
	global_load_dwordx2 v[20:21], v27, s[4:5]
.LBB7_511:                              ;   in Loop: Header=BB7_456 Depth=1
	v_readfirstlane_b32 s4, v31
	v_cmp_eq_u32_e64 s[4:5], s4, v31
	v_pk_mov_b32 v[2:3], 0, 0
	s_and_saveexec_b64 s[14:15], s[4:5]
	s_cbranch_execz .LBB7_517
; %bb.512:                              ;   in Loop: Header=BB7_456 Depth=1
	global_load_dwordx2 v[24:25], v27, s[6:7] offset:24 glc
	s_waitcnt vmcnt(0)
	buffer_invl2
	buffer_wbinvl1_vol
	global_load_dwordx2 v[2:3], v27, s[6:7] offset:40
	global_load_dwordx2 v[22:23], v27, s[6:7]
	s_waitcnt vmcnt(1)
	v_and_b32_e32 v2, v2, v24
	v_and_b32_e32 v3, v3, v25
	v_mul_lo_u32 v3, v3, 24
	v_mul_hi_u32 v26, v2, 24
	v_mul_lo_u32 v2, v2, 24
	v_add_u32_e32 v3, v26, v3
	s_waitcnt vmcnt(0)
	v_add_co_u32_e32 v2, vcc, v22, v2
	v_addc_co_u32_e32 v3, vcc, v23, v3, vcc
	global_load_dwordx2 v[22:23], v[2:3], off glc
	s_waitcnt vmcnt(0)
	global_atomic_cmpswap_x2 v[2:3], v27, v[22:25], s[6:7] offset:24 glc
	s_waitcnt vmcnt(0)
	buffer_invl2
	buffer_wbinvl1_vol
	v_cmp_ne_u64_e32 vcc, v[2:3], v[24:25]
	s_and_saveexec_b64 s[16:17], vcc
	s_cbranch_execz .LBB7_516
; %bb.513:                              ;   in Loop: Header=BB7_456 Depth=1
	s_mov_b64 s[18:19], 0
.LBB7_514:                              ;   Parent Loop BB7_456 Depth=1
                                        ; =>  This Inner Loop Header: Depth=2
	s_sleep 1
	global_load_dwordx2 v[22:23], v27, s[6:7] offset:40
	global_load_dwordx2 v[28:29], v27, s[6:7]
	v_pk_mov_b32 v[24:25], v[2:3], v[2:3] op_sel:[0,1]
	s_waitcnt vmcnt(1)
	v_and_b32_e32 v2, v22, v24
	s_waitcnt vmcnt(0)
	v_mad_u64_u32 v[2:3], s[20:21], v2, 24, v[28:29]
	v_and_b32_e32 v23, v23, v25
	v_mov_b32_e32 v22, v3
	v_mad_u64_u32 v[22:23], s[20:21], v23, 24, v[22:23]
	v_mov_b32_e32 v3, v22
	global_load_dwordx2 v[22:23], v[2:3], off glc
	s_waitcnt vmcnt(0)
	global_atomic_cmpswap_x2 v[2:3], v27, v[22:25], s[6:7] offset:24 glc
	s_waitcnt vmcnt(0)
	buffer_invl2
	buffer_wbinvl1_vol
	v_cmp_eq_u64_e32 vcc, v[2:3], v[24:25]
	s_or_b64 s[18:19], vcc, s[18:19]
	s_andn2_b64 exec, exec, s[18:19]
	s_cbranch_execnz .LBB7_514
; %bb.515:                              ;   in Loop: Header=BB7_456 Depth=1
	s_or_b64 exec, exec, s[18:19]
.LBB7_516:                              ;   in Loop: Header=BB7_456 Depth=1
	s_or_b64 exec, exec, s[16:17]
.LBB7_517:                              ;   in Loop: Header=BB7_456 Depth=1
	s_or_b64 exec, exec, s[14:15]
	global_load_dwordx2 v[28:29], v27, s[6:7] offset:40
	global_load_dwordx4 v[22:25], v27, s[6:7]
	v_readfirstlane_b32 s14, v2
	v_readfirstlane_b32 s15, v3
	s_mov_b64 s[16:17], exec
	s_waitcnt vmcnt(1)
	v_readfirstlane_b32 s18, v28
	v_readfirstlane_b32 s19, v29
	s_and_b64 s[18:19], s[14:15], s[18:19]
	s_mul_i32 s20, s19, 24
	s_mul_hi_u32 s21, s18, 24
	s_mul_i32 s22, s18, 24
	s_add_i32 s20, s21, s20
	v_mov_b32_e32 v2, s20
	s_waitcnt vmcnt(0)
	v_add_co_u32_e32 v28, vcc, s22, v22
	v_addc_co_u32_e32 v29, vcc, v23, v2, vcc
	s_and_saveexec_b64 s[20:21], s[4:5]
	s_cbranch_execz .LBB7_519
; %bb.518:                              ;   in Loop: Header=BB7_456 Depth=1
	v_pk_mov_b32 v[2:3], s[16:17], s[16:17] op_sel:[0,1]
	global_store_dwordx4 v[28:29], v[2:5], off offset:8
.LBB7_519:                              ;   in Loop: Header=BB7_456 Depth=1
	s_or_b64 exec, exec, s[20:21]
	s_lshl_b64 s[16:17], s[18:19], 12
	v_mov_b32_e32 v3, s17
	v_add_co_u32_e32 v2, vcc, s16, v24
	v_addc_co_u32_e32 v3, vcc, v25, v3, vcc
	v_or_b32_e32 v24, 2, v6
	v_cmp_gt_u64_e64 vcc, s[10:11], 56
	s_lshl_b32 s16, s12, 2
	v_cndmask_b32_e32 v6, v24, v6, vcc
	s_add_i32 s16, s16, 28
	s_and_b32 s16, s16, 0x1e0
	v_and_b32_e32 v6, 0xffffff1f, v6
	v_or_b32_e32 v6, s16, v6
	v_readfirstlane_b32 s16, v2
	v_readfirstlane_b32 s17, v3
	s_nop 4
	global_store_dwordx4 v30, v[6:9], s[16:17]
	global_store_dwordx4 v30, v[10:13], s[16:17] offset:16
	global_store_dwordx4 v30, v[14:17], s[16:17] offset:32
	;; [unrolled: 1-line block ×3, first 2 shown]
	s_and_saveexec_b64 s[16:17], s[4:5]
	s_cbranch_execz .LBB7_527
; %bb.520:                              ;   in Loop: Header=BB7_456 Depth=1
	global_load_dwordx2 v[14:15], v27, s[6:7] offset:32 glc
	global_load_dwordx2 v[6:7], v27, s[6:7] offset:40
	v_mov_b32_e32 v12, s14
	v_mov_b32_e32 v13, s15
	s_waitcnt vmcnt(0)
	v_readfirstlane_b32 s18, v6
	v_readfirstlane_b32 s19, v7
	s_and_b64 s[18:19], s[18:19], s[14:15]
	s_mul_i32 s19, s19, 24
	s_mul_hi_u32 s20, s18, 24
	s_mul_i32 s18, s18, 24
	s_add_i32 s19, s20, s19
	v_mov_b32_e32 v6, s19
	v_add_co_u32_e32 v10, vcc, s18, v22
	v_addc_co_u32_e32 v11, vcc, v23, v6, vcc
	global_store_dwordx2 v[10:11], v[14:15], off
	buffer_wbl2
	s_waitcnt vmcnt(0)
	global_atomic_cmpswap_x2 v[8:9], v27, v[12:15], s[6:7] offset:32 glc
	s_waitcnt vmcnt(0)
	v_cmp_ne_u64_e32 vcc, v[8:9], v[14:15]
	s_and_saveexec_b64 s[18:19], vcc
	s_cbranch_execz .LBB7_523
; %bb.521:                              ;   in Loop: Header=BB7_456 Depth=1
	s_mov_b64 s[20:21], 0
.LBB7_522:                              ;   Parent Loop BB7_456 Depth=1
                                        ; =>  This Inner Loop Header: Depth=2
	s_sleep 1
	global_store_dwordx2 v[10:11], v[8:9], off
	v_mov_b32_e32 v6, s14
	v_mov_b32_e32 v7, s15
	buffer_wbl2
	s_waitcnt vmcnt(0)
	global_atomic_cmpswap_x2 v[6:7], v27, v[6:9], s[6:7] offset:32 glc
	s_waitcnt vmcnt(0)
	v_cmp_eq_u64_e32 vcc, v[6:7], v[8:9]
	s_or_b64 s[20:21], vcc, s[20:21]
	v_pk_mov_b32 v[8:9], v[6:7], v[6:7] op_sel:[0,1]
	s_andn2_b64 exec, exec, s[20:21]
	s_cbranch_execnz .LBB7_522
.LBB7_523:                              ;   in Loop: Header=BB7_456 Depth=1
	s_or_b64 exec, exec, s[18:19]
	global_load_dwordx2 v[6:7], v27, s[6:7] offset:16
	s_mov_b64 s[20:21], exec
	v_mbcnt_lo_u32_b32 v8, s20, 0
	v_mbcnt_hi_u32_b32 v8, s21, v8
	v_cmp_eq_u32_e32 vcc, 0, v8
	s_and_saveexec_b64 s[18:19], vcc
	s_cbranch_execz .LBB7_525
; %bb.524:                              ;   in Loop: Header=BB7_456 Depth=1
	s_bcnt1_i32_b64 s20, s[20:21]
	v_mov_b32_e32 v26, s20
	buffer_wbl2
	s_waitcnt vmcnt(0)
	global_atomic_add_x2 v[6:7], v[26:27], off offset:8
.LBB7_525:                              ;   in Loop: Header=BB7_456 Depth=1
	s_or_b64 exec, exec, s[18:19]
	s_waitcnt vmcnt(0)
	global_load_dwordx2 v[8:9], v[6:7], off offset:16
	s_waitcnt vmcnt(0)
	v_cmp_eq_u64_e32 vcc, 0, v[8:9]
	s_cbranch_vccnz .LBB7_527
; %bb.526:                              ;   in Loop: Header=BB7_456 Depth=1
	global_load_dword v26, v[6:7], off offset:24
	s_waitcnt vmcnt(0)
	v_and_b32_e32 v6, 0xffffff, v26
	v_readfirstlane_b32 m0, v6
	buffer_wbl2
	global_store_dwordx2 v[8:9], v[26:27], off
	s_sendmsg sendmsg(MSG_INTERRUPT)
.LBB7_527:                              ;   in Loop: Header=BB7_456 Depth=1
	s_or_b64 exec, exec, s[16:17]
	v_add_co_u32_e32 v2, vcc, v2, v30
	v_addc_co_u32_e32 v3, vcc, 0, v3, vcc
	s_branch .LBB7_531
.LBB7_528:                              ;   in Loop: Header=BB7_531 Depth=2
	s_or_b64 exec, exec, s[16:17]
	v_readfirstlane_b32 s16, v6
	s_cmp_eq_u32 s16, 0
	s_cbranch_scc1 .LBB7_530
; %bb.529:                              ;   in Loop: Header=BB7_531 Depth=2
	s_sleep 1
	s_cbranch_execnz .LBB7_531
	s_branch .LBB7_533
.LBB7_530:                              ;   in Loop: Header=BB7_456 Depth=1
	s_branch .LBB7_533
.LBB7_531:                              ;   Parent Loop BB7_456 Depth=1
                                        ; =>  This Inner Loop Header: Depth=2
	v_mov_b32_e32 v6, 1
	s_and_saveexec_b64 s[16:17], s[4:5]
	s_cbranch_execz .LBB7_528
; %bb.532:                              ;   in Loop: Header=BB7_531 Depth=2
	global_load_dword v6, v[28:29], off offset:20 glc
	s_waitcnt vmcnt(0)
	buffer_invl2
	buffer_wbinvl1_vol
	v_and_b32_e32 v6, 1, v6
	s_branch .LBB7_528
.LBB7_533:                              ;   in Loop: Header=BB7_456 Depth=1
	global_load_dwordx4 v[6:9], v[2:3], off
	s_and_saveexec_b64 s[16:17], s[4:5]
	s_cbranch_execz .LBB7_455
; %bb.534:                              ;   in Loop: Header=BB7_456 Depth=1
	global_load_dwordx2 v[2:3], v27, s[6:7] offset:40
	global_load_dwordx2 v[12:13], v27, s[6:7] offset:24 glc
	global_load_dwordx2 v[14:15], v27, s[6:7]
	s_waitcnt vmcnt(3)
	v_mov_b32_e32 v9, s15
	s_waitcnt vmcnt(2)
	v_add_co_u32_e32 v11, vcc, 1, v2
	v_addc_co_u32_e32 v16, vcc, 0, v3, vcc
	v_add_co_u32_e32 v8, vcc, s14, v11
	v_addc_co_u32_e32 v9, vcc, v16, v9, vcc
	v_cmp_eq_u64_e32 vcc, 0, v[8:9]
	v_cndmask_b32_e32 v9, v9, v16, vcc
	v_cndmask_b32_e32 v8, v8, v11, vcc
	v_and_b32_e32 v3, v9, v3
	v_and_b32_e32 v2, v8, v2
	v_mul_lo_u32 v3, v3, 24
	v_mul_hi_u32 v11, v2, 24
	v_mul_lo_u32 v2, v2, 24
	v_add_u32_e32 v3, v11, v3
	s_waitcnt vmcnt(0)
	v_add_co_u32_e32 v2, vcc, v14, v2
	v_addc_co_u32_e32 v3, vcc, v15, v3, vcc
	v_mov_b32_e32 v10, v12
	global_store_dwordx2 v[2:3], v[12:13], off
	v_mov_b32_e32 v11, v13
	buffer_wbl2
	s_waitcnt vmcnt(0)
	global_atomic_cmpswap_x2 v[10:11], v27, v[8:11], s[6:7] offset:24 glc
	s_waitcnt vmcnt(0)
	v_cmp_ne_u64_e32 vcc, v[10:11], v[12:13]
	s_and_b64 exec, exec, vcc
	s_cbranch_execz .LBB7_455
; %bb.535:                              ;   in Loop: Header=BB7_456 Depth=1
	s_mov_b64 s[4:5], 0
.LBB7_536:                              ;   Parent Loop BB7_456 Depth=1
                                        ; =>  This Inner Loop Header: Depth=2
	s_sleep 1
	global_store_dwordx2 v[2:3], v[10:11], off
	buffer_wbl2
	s_waitcnt vmcnt(0)
	global_atomic_cmpswap_x2 v[12:13], v27, v[8:11], s[6:7] offset:24 glc
	s_waitcnt vmcnt(0)
	v_cmp_eq_u64_e32 vcc, v[12:13], v[10:11]
	s_or_b64 s[4:5], vcc, s[4:5]
	v_pk_mov_b32 v[10:11], v[12:13], v[12:13] op_sel:[0,1]
	s_andn2_b64 exec, exec, s[4:5]
	s_cbranch_execnz .LBB7_536
	s_branch .LBB7_455
.LBB7_537:
	global_load_dwordx2 v[0:1], v[10:11], off
	s_and_saveexec_b64 s[10:11], s[4:5]
	s_cbranch_execz .LBB7_540
; %bb.538:
	v_mov_b32_e32 v8, 0
	global_load_dwordx2 v[6:7], v8, s[6:7] offset:40
	global_load_dwordx2 v[10:11], v8, s[6:7] offset:24 glc
	global_load_dwordx2 v[12:13], v8, s[6:7]
	v_mov_b32_e32 v3, s9
	s_mov_b64 s[4:5], 0
	s_waitcnt vmcnt(2)
	v_add_co_u32_e32 v5, vcc, 1, v6
	v_addc_co_u32_e32 v9, vcc, 0, v7, vcc
	v_add_co_u32_e32 v2, vcc, s8, v5
	v_addc_co_u32_e32 v3, vcc, v9, v3, vcc
	v_cmp_eq_u64_e32 vcc, 0, v[2:3]
	v_cndmask_b32_e32 v3, v3, v9, vcc
	v_cndmask_b32_e32 v2, v2, v5, vcc
	v_and_b32_e32 v5, v3, v7
	v_and_b32_e32 v6, v2, v6
	v_mul_lo_u32 v5, v5, 24
	v_mul_hi_u32 v7, v6, 24
	v_mul_lo_u32 v6, v6, 24
	v_add_u32_e32 v5, v7, v5
	s_waitcnt vmcnt(0)
	v_add_co_u32_e32 v6, vcc, v12, v6
	v_addc_co_u32_e32 v7, vcc, v13, v5, vcc
	v_mov_b32_e32 v4, v10
	global_store_dwordx2 v[6:7], v[10:11], off
	v_mov_b32_e32 v5, v11
	buffer_wbl2
	s_waitcnt vmcnt(0)
	global_atomic_cmpswap_x2 v[4:5], v8, v[2:5], s[6:7] offset:24 glc
	s_waitcnt vmcnt(0)
	v_cmp_ne_u64_e32 vcc, v[4:5], v[10:11]
	s_and_b64 exec, exec, vcc
	s_cbranch_execz .LBB7_540
.LBB7_539:                              ; =>This Inner Loop Header: Depth=1
	s_sleep 1
	global_store_dwordx2 v[6:7], v[4:5], off
	buffer_wbl2
	s_waitcnt vmcnt(0)
	global_atomic_cmpswap_x2 v[10:11], v8, v[2:5], s[6:7] offset:24 glc
	s_waitcnt vmcnt(0)
	v_cmp_eq_u64_e32 vcc, v[10:11], v[4:5]
	s_or_b64 s[4:5], vcc, s[4:5]
	v_pk_mov_b32 v[4:5], v[10:11], v[10:11] op_sel:[0,1]
	s_andn2_b64 exec, exec, s[4:5]
	s_cbranch_execnz .LBB7_539
.LBB7_540:
	s_or_b64 exec, exec, s[10:11]
	s_getpc_b64 s[8:9]
	s_add_u32 s8, s8, .str.28@rel32@lo+4
	s_addc_u32 s9, s9, .str.28@rel32@hi+12
	s_cmp_lg_u64 s[8:9], 0
	s_cbranch_scc0 .LBB7_744
; %bb.541:
	s_waitcnt vmcnt(0)
	v_and_b32_e32 v6, -3, v0
	v_mov_b32_e32 v7, v1
	s_mov_b64 s[10:11], 35
	v_mov_b32_e32 v27, 0
	v_mov_b32_e32 v4, 2
	;; [unrolled: 1-line block ×3, first 2 shown]
	s_branch .LBB7_543
.LBB7_542:                              ;   in Loop: Header=BB7_543 Depth=1
	s_or_b64 exec, exec, s[16:17]
	s_sub_u32 s10, s10, s12
	s_subb_u32 s11, s11, s13
	s_add_u32 s8, s8, s12
	s_addc_u32 s9, s9, s13
	s_cmp_lg_u64 s[10:11], 0
	s_cbranch_scc0 .LBB7_712
.LBB7_543:                              ; =>This Loop Header: Depth=1
                                        ;     Child Loop BB7_546 Depth 2
                                        ;     Child Loop BB7_553 Depth 2
	;; [unrolled: 1-line block ×11, first 2 shown]
	v_cmp_lt_u64_e64 s[4:5], s[10:11], 56
	s_and_b64 s[4:5], s[4:5], exec
	v_cmp_gt_u64_e64 s[4:5], s[10:11], 7
	s_cselect_b32 s13, s11, 0
	s_cselect_b32 s12, s10, 56
	s_and_b64 vcc, exec, s[4:5]
	s_cbranch_vccnz .LBB7_548
; %bb.544:                              ;   in Loop: Header=BB7_543 Depth=1
	s_mov_b64 s[4:5], 0
	s_cmp_eq_u64 s[10:11], 0
	s_waitcnt vmcnt(0)
	v_pk_mov_b32 v[8:9], 0, 0
	s_cbranch_scc1 .LBB7_547
; %bb.545:                              ;   in Loop: Header=BB7_543 Depth=1
	s_lshl_b64 s[14:15], s[12:13], 3
	s_mov_b64 s[16:17], 0
	v_pk_mov_b32 v[8:9], 0, 0
	s_mov_b64 s[18:19], s[8:9]
.LBB7_546:                              ;   Parent Loop BB7_543 Depth=1
                                        ; =>  This Inner Loop Header: Depth=2
	global_load_ubyte v2, v27, s[18:19]
	s_waitcnt vmcnt(0)
	v_and_b32_e32 v26, 0xffff, v2
	v_lshlrev_b64 v[2:3], s16, v[26:27]
	s_add_u32 s16, s16, 8
	s_addc_u32 s17, s17, 0
	s_add_u32 s18, s18, 1
	s_addc_u32 s19, s19, 0
	v_or_b32_e32 v8, v2, v8
	s_cmp_lg_u32 s14, s16
	v_or_b32_e32 v9, v3, v9
	s_cbranch_scc1 .LBB7_546
.LBB7_547:                              ;   in Loop: Header=BB7_543 Depth=1
	s_mov_b32 s18, 0
	s_andn2_b64 vcc, exec, s[4:5]
	s_mov_b64 s[4:5], s[8:9]
	s_cbranch_vccz .LBB7_549
	s_branch .LBB7_550
.LBB7_548:                              ;   in Loop: Header=BB7_543 Depth=1
                                        ; implicit-def: $sgpr18
	s_mov_b64 s[4:5], s[8:9]
.LBB7_549:                              ;   in Loop: Header=BB7_543 Depth=1
	global_load_dwordx2 v[8:9], v27, s[8:9]
	s_add_i32 s18, s12, -8
	s_add_u32 s4, s8, 8
	s_addc_u32 s5, s9, 0
.LBB7_550:                              ;   in Loop: Header=BB7_543 Depth=1
	s_cmp_gt_u32 s18, 7
	s_cbranch_scc1 .LBB7_554
; %bb.551:                              ;   in Loop: Header=BB7_543 Depth=1
	s_cmp_eq_u32 s18, 0
	s_cbranch_scc1 .LBB7_555
; %bb.552:                              ;   in Loop: Header=BB7_543 Depth=1
	s_mov_b64 s[14:15], 0
	v_pk_mov_b32 v[10:11], 0, 0
	s_mov_b64 s[16:17], 0
.LBB7_553:                              ;   Parent Loop BB7_543 Depth=1
                                        ; =>  This Inner Loop Header: Depth=2
	s_add_u32 s20, s4, s16
	s_addc_u32 s21, s5, s17
	global_load_ubyte v2, v27, s[20:21]
	s_add_u32 s16, s16, 1
	s_addc_u32 s17, s17, 0
	s_waitcnt vmcnt(0)
	v_and_b32_e32 v26, 0xffff, v2
	v_lshlrev_b64 v[2:3], s14, v[26:27]
	s_add_u32 s14, s14, 8
	s_addc_u32 s15, s15, 0
	v_or_b32_e32 v10, v2, v10
	s_cmp_lg_u32 s18, s16
	v_or_b32_e32 v11, v3, v11
	s_cbranch_scc1 .LBB7_553
	s_branch .LBB7_556
.LBB7_554:                              ;   in Loop: Header=BB7_543 Depth=1
                                        ; implicit-def: $vgpr10_vgpr11
                                        ; implicit-def: $sgpr19
	s_branch .LBB7_557
.LBB7_555:                              ;   in Loop: Header=BB7_543 Depth=1
	v_pk_mov_b32 v[10:11], 0, 0
.LBB7_556:                              ;   in Loop: Header=BB7_543 Depth=1
	s_mov_b32 s19, 0
	s_cbranch_execnz .LBB7_558
.LBB7_557:                              ;   in Loop: Header=BB7_543 Depth=1
	global_load_dwordx2 v[10:11], v27, s[4:5]
	s_add_i32 s19, s18, -8
	s_add_u32 s4, s4, 8
	s_addc_u32 s5, s5, 0
.LBB7_558:                              ;   in Loop: Header=BB7_543 Depth=1
	s_cmp_gt_u32 s19, 7
	s_cbranch_scc1 .LBB7_562
; %bb.559:                              ;   in Loop: Header=BB7_543 Depth=1
	s_cmp_eq_u32 s19, 0
	s_cbranch_scc1 .LBB7_563
; %bb.560:                              ;   in Loop: Header=BB7_543 Depth=1
	s_mov_b64 s[14:15], 0
	v_pk_mov_b32 v[12:13], 0, 0
	s_mov_b64 s[16:17], 0
.LBB7_561:                              ;   Parent Loop BB7_543 Depth=1
                                        ; =>  This Inner Loop Header: Depth=2
	s_add_u32 s20, s4, s16
	s_addc_u32 s21, s5, s17
	global_load_ubyte v2, v27, s[20:21]
	s_add_u32 s16, s16, 1
	s_addc_u32 s17, s17, 0
	s_waitcnt vmcnt(0)
	v_and_b32_e32 v26, 0xffff, v2
	v_lshlrev_b64 v[2:3], s14, v[26:27]
	s_add_u32 s14, s14, 8
	s_addc_u32 s15, s15, 0
	v_or_b32_e32 v12, v2, v12
	s_cmp_lg_u32 s19, s16
	v_or_b32_e32 v13, v3, v13
	s_cbranch_scc1 .LBB7_561
	s_branch .LBB7_564
.LBB7_562:                              ;   in Loop: Header=BB7_543 Depth=1
                                        ; implicit-def: $sgpr18
	s_branch .LBB7_565
.LBB7_563:                              ;   in Loop: Header=BB7_543 Depth=1
	v_pk_mov_b32 v[12:13], 0, 0
.LBB7_564:                              ;   in Loop: Header=BB7_543 Depth=1
	s_mov_b32 s18, 0
	s_cbranch_execnz .LBB7_566
.LBB7_565:                              ;   in Loop: Header=BB7_543 Depth=1
	global_load_dwordx2 v[12:13], v27, s[4:5]
	s_add_i32 s18, s19, -8
	s_add_u32 s4, s4, 8
	s_addc_u32 s5, s5, 0
.LBB7_566:                              ;   in Loop: Header=BB7_543 Depth=1
	s_cmp_gt_u32 s18, 7
	s_cbranch_scc1 .LBB7_570
; %bb.567:                              ;   in Loop: Header=BB7_543 Depth=1
	s_cmp_eq_u32 s18, 0
	s_cbranch_scc1 .LBB7_571
; %bb.568:                              ;   in Loop: Header=BB7_543 Depth=1
	s_mov_b64 s[14:15], 0
	v_pk_mov_b32 v[14:15], 0, 0
	s_mov_b64 s[16:17], 0
.LBB7_569:                              ;   Parent Loop BB7_543 Depth=1
                                        ; =>  This Inner Loop Header: Depth=2
	s_add_u32 s20, s4, s16
	s_addc_u32 s21, s5, s17
	global_load_ubyte v2, v27, s[20:21]
	s_add_u32 s16, s16, 1
	s_addc_u32 s17, s17, 0
	s_waitcnt vmcnt(0)
	v_and_b32_e32 v26, 0xffff, v2
	v_lshlrev_b64 v[2:3], s14, v[26:27]
	s_add_u32 s14, s14, 8
	s_addc_u32 s15, s15, 0
	v_or_b32_e32 v14, v2, v14
	s_cmp_lg_u32 s18, s16
	v_or_b32_e32 v15, v3, v15
	s_cbranch_scc1 .LBB7_569
	s_branch .LBB7_572
.LBB7_570:                              ;   in Loop: Header=BB7_543 Depth=1
                                        ; implicit-def: $vgpr14_vgpr15
                                        ; implicit-def: $sgpr19
	s_branch .LBB7_573
.LBB7_571:                              ;   in Loop: Header=BB7_543 Depth=1
	v_pk_mov_b32 v[14:15], 0, 0
.LBB7_572:                              ;   in Loop: Header=BB7_543 Depth=1
	s_mov_b32 s19, 0
	s_cbranch_execnz .LBB7_574
.LBB7_573:                              ;   in Loop: Header=BB7_543 Depth=1
	global_load_dwordx2 v[14:15], v27, s[4:5]
	s_add_i32 s19, s18, -8
	s_add_u32 s4, s4, 8
	s_addc_u32 s5, s5, 0
.LBB7_574:                              ;   in Loop: Header=BB7_543 Depth=1
	s_cmp_gt_u32 s19, 7
	s_cbranch_scc1 .LBB7_578
; %bb.575:                              ;   in Loop: Header=BB7_543 Depth=1
	s_cmp_eq_u32 s19, 0
	s_cbranch_scc1 .LBB7_579
; %bb.576:                              ;   in Loop: Header=BB7_543 Depth=1
	s_mov_b64 s[14:15], 0
	v_pk_mov_b32 v[16:17], 0, 0
	s_mov_b64 s[16:17], 0
.LBB7_577:                              ;   Parent Loop BB7_543 Depth=1
                                        ; =>  This Inner Loop Header: Depth=2
	s_add_u32 s20, s4, s16
	s_addc_u32 s21, s5, s17
	global_load_ubyte v2, v27, s[20:21]
	s_add_u32 s16, s16, 1
	s_addc_u32 s17, s17, 0
	s_waitcnt vmcnt(0)
	v_and_b32_e32 v26, 0xffff, v2
	v_lshlrev_b64 v[2:3], s14, v[26:27]
	s_add_u32 s14, s14, 8
	s_addc_u32 s15, s15, 0
	v_or_b32_e32 v16, v2, v16
	s_cmp_lg_u32 s19, s16
	v_or_b32_e32 v17, v3, v17
	s_cbranch_scc1 .LBB7_577
	s_branch .LBB7_580
.LBB7_578:                              ;   in Loop: Header=BB7_543 Depth=1
                                        ; implicit-def: $sgpr18
	s_branch .LBB7_581
.LBB7_579:                              ;   in Loop: Header=BB7_543 Depth=1
	v_pk_mov_b32 v[16:17], 0, 0
.LBB7_580:                              ;   in Loop: Header=BB7_543 Depth=1
	s_mov_b32 s18, 0
	s_cbranch_execnz .LBB7_582
.LBB7_581:                              ;   in Loop: Header=BB7_543 Depth=1
	global_load_dwordx2 v[16:17], v27, s[4:5]
	s_add_i32 s18, s19, -8
	s_add_u32 s4, s4, 8
	s_addc_u32 s5, s5, 0
.LBB7_582:                              ;   in Loop: Header=BB7_543 Depth=1
	s_cmp_gt_u32 s18, 7
	s_cbranch_scc1 .LBB7_586
; %bb.583:                              ;   in Loop: Header=BB7_543 Depth=1
	s_cmp_eq_u32 s18, 0
	s_cbranch_scc1 .LBB7_587
; %bb.584:                              ;   in Loop: Header=BB7_543 Depth=1
	s_mov_b64 s[14:15], 0
	v_pk_mov_b32 v[18:19], 0, 0
	s_mov_b64 s[16:17], 0
.LBB7_585:                              ;   Parent Loop BB7_543 Depth=1
                                        ; =>  This Inner Loop Header: Depth=2
	s_add_u32 s20, s4, s16
	s_addc_u32 s21, s5, s17
	global_load_ubyte v2, v27, s[20:21]
	s_add_u32 s16, s16, 1
	s_addc_u32 s17, s17, 0
	s_waitcnt vmcnt(0)
	v_and_b32_e32 v26, 0xffff, v2
	v_lshlrev_b64 v[2:3], s14, v[26:27]
	s_add_u32 s14, s14, 8
	s_addc_u32 s15, s15, 0
	v_or_b32_e32 v18, v2, v18
	s_cmp_lg_u32 s18, s16
	v_or_b32_e32 v19, v3, v19
	s_cbranch_scc1 .LBB7_585
	s_branch .LBB7_588
.LBB7_586:                              ;   in Loop: Header=BB7_543 Depth=1
                                        ; implicit-def: $vgpr18_vgpr19
                                        ; implicit-def: $sgpr19
	s_branch .LBB7_589
.LBB7_587:                              ;   in Loop: Header=BB7_543 Depth=1
	v_pk_mov_b32 v[18:19], 0, 0
.LBB7_588:                              ;   in Loop: Header=BB7_543 Depth=1
	s_mov_b32 s19, 0
	s_cbranch_execnz .LBB7_590
.LBB7_589:                              ;   in Loop: Header=BB7_543 Depth=1
	global_load_dwordx2 v[18:19], v27, s[4:5]
	s_add_i32 s19, s18, -8
	s_add_u32 s4, s4, 8
	s_addc_u32 s5, s5, 0
.LBB7_590:                              ;   in Loop: Header=BB7_543 Depth=1
	s_cmp_gt_u32 s19, 7
	s_cbranch_scc1 .LBB7_594
; %bb.591:                              ;   in Loop: Header=BB7_543 Depth=1
	s_cmp_eq_u32 s19, 0
	s_cbranch_scc1 .LBB7_595
; %bb.592:                              ;   in Loop: Header=BB7_543 Depth=1
	s_mov_b64 s[14:15], 0
	v_pk_mov_b32 v[20:21], 0, 0
	s_mov_b64 s[16:17], s[4:5]
.LBB7_593:                              ;   Parent Loop BB7_543 Depth=1
                                        ; =>  This Inner Loop Header: Depth=2
	global_load_ubyte v2, v27, s[16:17]
	s_add_i32 s19, s19, -1
	s_waitcnt vmcnt(0)
	v_and_b32_e32 v26, 0xffff, v2
	v_lshlrev_b64 v[2:3], s14, v[26:27]
	s_add_u32 s14, s14, 8
	s_addc_u32 s15, s15, 0
	s_add_u32 s16, s16, 1
	s_addc_u32 s17, s17, 0
	v_or_b32_e32 v20, v2, v20
	s_cmp_lg_u32 s19, 0
	v_or_b32_e32 v21, v3, v21
	s_cbranch_scc1 .LBB7_593
	s_branch .LBB7_596
.LBB7_594:                              ;   in Loop: Header=BB7_543 Depth=1
	s_branch .LBB7_597
.LBB7_595:                              ;   in Loop: Header=BB7_543 Depth=1
	v_pk_mov_b32 v[20:21], 0, 0
.LBB7_596:                              ;   in Loop: Header=BB7_543 Depth=1
	s_cbranch_execnz .LBB7_598
.LBB7_597:                              ;   in Loop: Header=BB7_543 Depth=1
	global_load_dwordx2 v[20:21], v27, s[4:5]
.LBB7_598:                              ;   in Loop: Header=BB7_543 Depth=1
	v_readfirstlane_b32 s4, v31
	v_cmp_eq_u32_e64 s[4:5], s4, v31
	v_pk_mov_b32 v[2:3], 0, 0
	s_and_saveexec_b64 s[14:15], s[4:5]
	s_cbranch_execz .LBB7_604
; %bb.599:                              ;   in Loop: Header=BB7_543 Depth=1
	global_load_dwordx2 v[24:25], v27, s[6:7] offset:24 glc
	s_waitcnt vmcnt(0)
	buffer_invl2
	buffer_wbinvl1_vol
	global_load_dwordx2 v[2:3], v27, s[6:7] offset:40
	global_load_dwordx2 v[22:23], v27, s[6:7]
	s_waitcnt vmcnt(1)
	v_and_b32_e32 v2, v2, v24
	v_and_b32_e32 v3, v3, v25
	v_mul_lo_u32 v3, v3, 24
	v_mul_hi_u32 v26, v2, 24
	v_mul_lo_u32 v2, v2, 24
	v_add_u32_e32 v3, v26, v3
	s_waitcnt vmcnt(0)
	v_add_co_u32_e32 v2, vcc, v22, v2
	v_addc_co_u32_e32 v3, vcc, v23, v3, vcc
	global_load_dwordx2 v[22:23], v[2:3], off glc
	s_waitcnt vmcnt(0)
	global_atomic_cmpswap_x2 v[2:3], v27, v[22:25], s[6:7] offset:24 glc
	s_waitcnt vmcnt(0)
	buffer_invl2
	buffer_wbinvl1_vol
	v_cmp_ne_u64_e32 vcc, v[2:3], v[24:25]
	s_and_saveexec_b64 s[16:17], vcc
	s_cbranch_execz .LBB7_603
; %bb.600:                              ;   in Loop: Header=BB7_543 Depth=1
	s_mov_b64 s[18:19], 0
.LBB7_601:                              ;   Parent Loop BB7_543 Depth=1
                                        ; =>  This Inner Loop Header: Depth=2
	s_sleep 1
	global_load_dwordx2 v[22:23], v27, s[6:7] offset:40
	global_load_dwordx2 v[28:29], v27, s[6:7]
	v_pk_mov_b32 v[24:25], v[2:3], v[2:3] op_sel:[0,1]
	s_waitcnt vmcnt(1)
	v_and_b32_e32 v2, v22, v24
	s_waitcnt vmcnt(0)
	v_mad_u64_u32 v[2:3], s[20:21], v2, 24, v[28:29]
	v_and_b32_e32 v23, v23, v25
	v_mov_b32_e32 v22, v3
	v_mad_u64_u32 v[22:23], s[20:21], v23, 24, v[22:23]
	v_mov_b32_e32 v3, v22
	global_load_dwordx2 v[22:23], v[2:3], off glc
	s_waitcnt vmcnt(0)
	global_atomic_cmpswap_x2 v[2:3], v27, v[22:25], s[6:7] offset:24 glc
	s_waitcnt vmcnt(0)
	buffer_invl2
	buffer_wbinvl1_vol
	v_cmp_eq_u64_e32 vcc, v[2:3], v[24:25]
	s_or_b64 s[18:19], vcc, s[18:19]
	s_andn2_b64 exec, exec, s[18:19]
	s_cbranch_execnz .LBB7_601
; %bb.602:                              ;   in Loop: Header=BB7_543 Depth=1
	s_or_b64 exec, exec, s[18:19]
.LBB7_603:                              ;   in Loop: Header=BB7_543 Depth=1
	s_or_b64 exec, exec, s[16:17]
.LBB7_604:                              ;   in Loop: Header=BB7_543 Depth=1
	s_or_b64 exec, exec, s[14:15]
	global_load_dwordx2 v[28:29], v27, s[6:7] offset:40
	global_load_dwordx4 v[22:25], v27, s[6:7]
	v_readfirstlane_b32 s14, v2
	v_readfirstlane_b32 s15, v3
	s_mov_b64 s[16:17], exec
	s_waitcnt vmcnt(1)
	v_readfirstlane_b32 s18, v28
	v_readfirstlane_b32 s19, v29
	s_and_b64 s[18:19], s[14:15], s[18:19]
	s_mul_i32 s20, s19, 24
	s_mul_hi_u32 s21, s18, 24
	s_mul_i32 s22, s18, 24
	s_add_i32 s20, s21, s20
	v_mov_b32_e32 v2, s20
	s_waitcnt vmcnt(0)
	v_add_co_u32_e32 v28, vcc, s22, v22
	v_addc_co_u32_e32 v29, vcc, v23, v2, vcc
	s_and_saveexec_b64 s[20:21], s[4:5]
	s_cbranch_execz .LBB7_606
; %bb.605:                              ;   in Loop: Header=BB7_543 Depth=1
	v_pk_mov_b32 v[2:3], s[16:17], s[16:17] op_sel:[0,1]
	global_store_dwordx4 v[28:29], v[2:5], off offset:8
.LBB7_606:                              ;   in Loop: Header=BB7_543 Depth=1
	s_or_b64 exec, exec, s[20:21]
	s_lshl_b64 s[16:17], s[18:19], 12
	v_mov_b32_e32 v3, s17
	v_add_co_u32_e32 v2, vcc, s16, v24
	v_addc_co_u32_e32 v3, vcc, v25, v3, vcc
	v_or_b32_e32 v24, 2, v6
	v_cmp_gt_u64_e64 vcc, s[10:11], 56
	s_lshl_b32 s16, s12, 2
	v_cndmask_b32_e32 v6, v24, v6, vcc
	s_add_i32 s16, s16, 28
	s_and_b32 s16, s16, 0x1e0
	v_and_b32_e32 v6, 0xffffff1f, v6
	v_or_b32_e32 v6, s16, v6
	v_readfirstlane_b32 s16, v2
	v_readfirstlane_b32 s17, v3
	s_nop 4
	global_store_dwordx4 v30, v[6:9], s[16:17]
	global_store_dwordx4 v30, v[10:13], s[16:17] offset:16
	global_store_dwordx4 v30, v[14:17], s[16:17] offset:32
	;; [unrolled: 1-line block ×3, first 2 shown]
	s_and_saveexec_b64 s[16:17], s[4:5]
	s_cbranch_execz .LBB7_614
; %bb.607:                              ;   in Loop: Header=BB7_543 Depth=1
	global_load_dwordx2 v[14:15], v27, s[6:7] offset:32 glc
	global_load_dwordx2 v[6:7], v27, s[6:7] offset:40
	v_mov_b32_e32 v12, s14
	v_mov_b32_e32 v13, s15
	s_waitcnt vmcnt(0)
	v_readfirstlane_b32 s18, v6
	v_readfirstlane_b32 s19, v7
	s_and_b64 s[18:19], s[18:19], s[14:15]
	s_mul_i32 s19, s19, 24
	s_mul_hi_u32 s20, s18, 24
	s_mul_i32 s18, s18, 24
	s_add_i32 s19, s20, s19
	v_mov_b32_e32 v6, s19
	v_add_co_u32_e32 v10, vcc, s18, v22
	v_addc_co_u32_e32 v11, vcc, v23, v6, vcc
	global_store_dwordx2 v[10:11], v[14:15], off
	buffer_wbl2
	s_waitcnt vmcnt(0)
	global_atomic_cmpswap_x2 v[8:9], v27, v[12:15], s[6:7] offset:32 glc
	s_waitcnt vmcnt(0)
	v_cmp_ne_u64_e32 vcc, v[8:9], v[14:15]
	s_and_saveexec_b64 s[18:19], vcc
	s_cbranch_execz .LBB7_610
; %bb.608:                              ;   in Loop: Header=BB7_543 Depth=1
	s_mov_b64 s[20:21], 0
.LBB7_609:                              ;   Parent Loop BB7_543 Depth=1
                                        ; =>  This Inner Loop Header: Depth=2
	s_sleep 1
	global_store_dwordx2 v[10:11], v[8:9], off
	v_mov_b32_e32 v6, s14
	v_mov_b32_e32 v7, s15
	buffer_wbl2
	s_waitcnt vmcnt(0)
	global_atomic_cmpswap_x2 v[6:7], v27, v[6:9], s[6:7] offset:32 glc
	s_waitcnt vmcnt(0)
	v_cmp_eq_u64_e32 vcc, v[6:7], v[8:9]
	s_or_b64 s[20:21], vcc, s[20:21]
	v_pk_mov_b32 v[8:9], v[6:7], v[6:7] op_sel:[0,1]
	s_andn2_b64 exec, exec, s[20:21]
	s_cbranch_execnz .LBB7_609
.LBB7_610:                              ;   in Loop: Header=BB7_543 Depth=1
	s_or_b64 exec, exec, s[18:19]
	global_load_dwordx2 v[6:7], v27, s[6:7] offset:16
	s_mov_b64 s[20:21], exec
	v_mbcnt_lo_u32_b32 v8, s20, 0
	v_mbcnt_hi_u32_b32 v8, s21, v8
	v_cmp_eq_u32_e32 vcc, 0, v8
	s_and_saveexec_b64 s[18:19], vcc
	s_cbranch_execz .LBB7_612
; %bb.611:                              ;   in Loop: Header=BB7_543 Depth=1
	s_bcnt1_i32_b64 s20, s[20:21]
	v_mov_b32_e32 v26, s20
	buffer_wbl2
	s_waitcnt vmcnt(0)
	global_atomic_add_x2 v[6:7], v[26:27], off offset:8
.LBB7_612:                              ;   in Loop: Header=BB7_543 Depth=1
	s_or_b64 exec, exec, s[18:19]
	s_waitcnt vmcnt(0)
	global_load_dwordx2 v[8:9], v[6:7], off offset:16
	s_waitcnt vmcnt(0)
	v_cmp_eq_u64_e32 vcc, 0, v[8:9]
	s_cbranch_vccnz .LBB7_614
; %bb.613:                              ;   in Loop: Header=BB7_543 Depth=1
	global_load_dword v26, v[6:7], off offset:24
	s_waitcnt vmcnt(0)
	v_and_b32_e32 v6, 0xffffff, v26
	v_readfirstlane_b32 m0, v6
	buffer_wbl2
	global_store_dwordx2 v[8:9], v[26:27], off
	s_sendmsg sendmsg(MSG_INTERRUPT)
.LBB7_614:                              ;   in Loop: Header=BB7_543 Depth=1
	s_or_b64 exec, exec, s[16:17]
	v_add_co_u32_e32 v2, vcc, v2, v30
	v_addc_co_u32_e32 v3, vcc, 0, v3, vcc
	s_branch .LBB7_618
.LBB7_615:                              ;   in Loop: Header=BB7_618 Depth=2
	s_or_b64 exec, exec, s[16:17]
	v_readfirstlane_b32 s16, v6
	s_cmp_eq_u32 s16, 0
	s_cbranch_scc1 .LBB7_617
; %bb.616:                              ;   in Loop: Header=BB7_618 Depth=2
	s_sleep 1
	s_cbranch_execnz .LBB7_618
	s_branch .LBB7_620
.LBB7_617:                              ;   in Loop: Header=BB7_543 Depth=1
	s_branch .LBB7_620
.LBB7_618:                              ;   Parent Loop BB7_543 Depth=1
                                        ; =>  This Inner Loop Header: Depth=2
	v_mov_b32_e32 v6, 1
	s_and_saveexec_b64 s[16:17], s[4:5]
	s_cbranch_execz .LBB7_615
; %bb.619:                              ;   in Loop: Header=BB7_618 Depth=2
	global_load_dword v6, v[28:29], off offset:20 glc
	s_waitcnt vmcnt(0)
	buffer_invl2
	buffer_wbinvl1_vol
	v_and_b32_e32 v6, 1, v6
	s_branch .LBB7_615
.LBB7_620:                              ;   in Loop: Header=BB7_543 Depth=1
	global_load_dwordx4 v[6:9], v[2:3], off
	s_and_saveexec_b64 s[16:17], s[4:5]
	s_cbranch_execz .LBB7_542
; %bb.621:                              ;   in Loop: Header=BB7_543 Depth=1
	global_load_dwordx2 v[2:3], v27, s[6:7] offset:40
	global_load_dwordx2 v[12:13], v27, s[6:7] offset:24 glc
	global_load_dwordx2 v[14:15], v27, s[6:7]
	s_waitcnt vmcnt(3)
	v_mov_b32_e32 v9, s15
	s_waitcnt vmcnt(2)
	v_add_co_u32_e32 v11, vcc, 1, v2
	v_addc_co_u32_e32 v16, vcc, 0, v3, vcc
	v_add_co_u32_e32 v8, vcc, s14, v11
	v_addc_co_u32_e32 v9, vcc, v16, v9, vcc
	v_cmp_eq_u64_e32 vcc, 0, v[8:9]
	v_cndmask_b32_e32 v9, v9, v16, vcc
	v_cndmask_b32_e32 v8, v8, v11, vcc
	v_and_b32_e32 v3, v9, v3
	v_and_b32_e32 v2, v8, v2
	v_mul_lo_u32 v3, v3, 24
	v_mul_hi_u32 v11, v2, 24
	v_mul_lo_u32 v2, v2, 24
	v_add_u32_e32 v3, v11, v3
	s_waitcnt vmcnt(0)
	v_add_co_u32_e32 v2, vcc, v14, v2
	v_addc_co_u32_e32 v3, vcc, v15, v3, vcc
	v_mov_b32_e32 v10, v12
	global_store_dwordx2 v[2:3], v[12:13], off
	v_mov_b32_e32 v11, v13
	buffer_wbl2
	s_waitcnt vmcnt(0)
	global_atomic_cmpswap_x2 v[10:11], v27, v[8:11], s[6:7] offset:24 glc
	s_waitcnt vmcnt(0)
	v_cmp_ne_u64_e32 vcc, v[10:11], v[12:13]
	s_and_b64 exec, exec, vcc
	s_cbranch_execz .LBB7_542
; %bb.622:                              ;   in Loop: Header=BB7_543 Depth=1
	s_mov_b64 s[4:5], 0
.LBB7_623:                              ;   Parent Loop BB7_543 Depth=1
                                        ; =>  This Inner Loop Header: Depth=2
	s_sleep 1
	global_store_dwordx2 v[2:3], v[10:11], off
	buffer_wbl2
	s_waitcnt vmcnt(0)
	global_atomic_cmpswap_x2 v[12:13], v27, v[8:11], s[6:7] offset:24 glc
	s_waitcnt vmcnt(0)
	v_cmp_eq_u64_e32 vcc, v[12:13], v[10:11]
	s_or_b64 s[4:5], vcc, s[4:5]
	v_pk_mov_b32 v[10:11], v[12:13], v[12:13] op_sel:[0,1]
	s_andn2_b64 exec, exec, s[4:5]
	s_cbranch_execnz .LBB7_623
	s_branch .LBB7_542
.LBB7_624:
	global_load_dwordx2 v[0:1], v[10:11], off
	s_and_saveexec_b64 s[10:11], s[4:5]
	s_cbranch_execz .LBB7_627
; %bb.625:
	v_mov_b32_e32 v8, 0
	global_load_dwordx2 v[6:7], v8, s[6:7] offset:40
	global_load_dwordx2 v[10:11], v8, s[6:7] offset:24 glc
	global_load_dwordx2 v[12:13], v8, s[6:7]
	v_mov_b32_e32 v3, s9
	s_mov_b64 s[4:5], 0
	s_waitcnt vmcnt(2)
	v_add_co_u32_e32 v5, vcc, 1, v6
	v_addc_co_u32_e32 v9, vcc, 0, v7, vcc
	v_add_co_u32_e32 v2, vcc, s8, v5
	v_addc_co_u32_e32 v3, vcc, v9, v3, vcc
	v_cmp_eq_u64_e32 vcc, 0, v[2:3]
	v_cndmask_b32_e32 v3, v3, v9, vcc
	v_cndmask_b32_e32 v2, v2, v5, vcc
	v_and_b32_e32 v5, v3, v7
	v_and_b32_e32 v6, v2, v6
	v_mul_lo_u32 v5, v5, 24
	v_mul_hi_u32 v7, v6, 24
	v_mul_lo_u32 v6, v6, 24
	v_add_u32_e32 v5, v7, v5
	s_waitcnt vmcnt(0)
	v_add_co_u32_e32 v6, vcc, v12, v6
	v_addc_co_u32_e32 v7, vcc, v13, v5, vcc
	v_mov_b32_e32 v4, v10
	global_store_dwordx2 v[6:7], v[10:11], off
	v_mov_b32_e32 v5, v11
	buffer_wbl2
	s_waitcnt vmcnt(0)
	global_atomic_cmpswap_x2 v[4:5], v8, v[2:5], s[6:7] offset:24 glc
	s_waitcnt vmcnt(0)
	v_cmp_ne_u64_e32 vcc, v[4:5], v[10:11]
	s_and_b64 exec, exec, vcc
	s_cbranch_execz .LBB7_627
.LBB7_626:                              ; =>This Inner Loop Header: Depth=1
	s_sleep 1
	global_store_dwordx2 v[6:7], v[4:5], off
	buffer_wbl2
	s_waitcnt vmcnt(0)
	global_atomic_cmpswap_x2 v[10:11], v8, v[2:5], s[6:7] offset:24 glc
	s_waitcnt vmcnt(0)
	v_cmp_eq_u64_e32 vcc, v[10:11], v[4:5]
	s_or_b64 s[4:5], vcc, s[4:5]
	v_pk_mov_b32 v[4:5], v[10:11], v[10:11] op_sel:[0,1]
	s_andn2_b64 exec, exec, s[4:5]
	s_cbranch_execnz .LBB7_626
.LBB7_627:
	s_or_b64 exec, exec, s[10:11]
	s_getpc_b64 s[8:9]
	s_add_u32 s8, s8, .str.28@rel32@lo+4
	s_addc_u32 s9, s9, .str.28@rel32@hi+12
	s_cmp_lg_u64 s[8:9], 0
	s_cbranch_scc0 .LBB7_773
; %bb.628:
	s_waitcnt vmcnt(0)
	v_and_b32_e32 v6, -3, v0
	v_mov_b32_e32 v7, v1
	s_mov_b64 s[10:11], 35
	v_mov_b32_e32 v27, 0
	v_mov_b32_e32 v4, 2
	;; [unrolled: 1-line block ×3, first 2 shown]
	s_branch .LBB7_630
.LBB7_629:                              ;   in Loop: Header=BB7_630 Depth=1
	s_or_b64 exec, exec, s[16:17]
	s_sub_u32 s10, s10, s12
	s_subb_u32 s11, s11, s13
	s_add_u32 s8, s8, s12
	s_addc_u32 s9, s9, s13
	s_cmp_lg_u64 s[10:11], 0
	s_cbranch_scc0 .LBB7_713
.LBB7_630:                              ; =>This Loop Header: Depth=1
                                        ;     Child Loop BB7_633 Depth 2
                                        ;     Child Loop BB7_640 Depth 2
                                        ;     Child Loop BB7_648 Depth 2
                                        ;     Child Loop BB7_656 Depth 2
                                        ;     Child Loop BB7_664 Depth 2
                                        ;     Child Loop BB7_672 Depth 2
                                        ;     Child Loop BB7_680 Depth 2
                                        ;     Child Loop BB7_688 Depth 2
                                        ;     Child Loop BB7_696 Depth 2
                                        ;     Child Loop BB7_705 Depth 2
                                        ;     Child Loop BB7_710 Depth 2
	v_cmp_lt_u64_e64 s[4:5], s[10:11], 56
	s_and_b64 s[4:5], s[4:5], exec
	v_cmp_gt_u64_e64 s[4:5], s[10:11], 7
	s_cselect_b32 s13, s11, 0
	s_cselect_b32 s12, s10, 56
	s_and_b64 vcc, exec, s[4:5]
	s_cbranch_vccnz .LBB7_635
; %bb.631:                              ;   in Loop: Header=BB7_630 Depth=1
	s_mov_b64 s[4:5], 0
	s_cmp_eq_u64 s[10:11], 0
	s_waitcnt vmcnt(0)
	v_pk_mov_b32 v[8:9], 0, 0
	s_cbranch_scc1 .LBB7_634
; %bb.632:                              ;   in Loop: Header=BB7_630 Depth=1
	s_lshl_b64 s[14:15], s[12:13], 3
	s_mov_b64 s[16:17], 0
	v_pk_mov_b32 v[8:9], 0, 0
	s_mov_b64 s[18:19], s[8:9]
.LBB7_633:                              ;   Parent Loop BB7_630 Depth=1
                                        ; =>  This Inner Loop Header: Depth=2
	global_load_ubyte v2, v27, s[18:19]
	s_waitcnt vmcnt(0)
	v_and_b32_e32 v26, 0xffff, v2
	v_lshlrev_b64 v[2:3], s16, v[26:27]
	s_add_u32 s16, s16, 8
	s_addc_u32 s17, s17, 0
	s_add_u32 s18, s18, 1
	s_addc_u32 s19, s19, 0
	v_or_b32_e32 v8, v2, v8
	s_cmp_lg_u32 s14, s16
	v_or_b32_e32 v9, v3, v9
	s_cbranch_scc1 .LBB7_633
.LBB7_634:                              ;   in Loop: Header=BB7_630 Depth=1
	s_mov_b32 s18, 0
	s_andn2_b64 vcc, exec, s[4:5]
	s_mov_b64 s[4:5], s[8:9]
	s_cbranch_vccz .LBB7_636
	s_branch .LBB7_637
.LBB7_635:                              ;   in Loop: Header=BB7_630 Depth=1
                                        ; implicit-def: $sgpr18
	s_mov_b64 s[4:5], s[8:9]
.LBB7_636:                              ;   in Loop: Header=BB7_630 Depth=1
	global_load_dwordx2 v[8:9], v27, s[8:9]
	s_add_i32 s18, s12, -8
	s_add_u32 s4, s8, 8
	s_addc_u32 s5, s9, 0
.LBB7_637:                              ;   in Loop: Header=BB7_630 Depth=1
	s_cmp_gt_u32 s18, 7
	s_cbranch_scc1 .LBB7_641
; %bb.638:                              ;   in Loop: Header=BB7_630 Depth=1
	s_cmp_eq_u32 s18, 0
	s_cbranch_scc1 .LBB7_642
; %bb.639:                              ;   in Loop: Header=BB7_630 Depth=1
	s_mov_b64 s[14:15], 0
	v_pk_mov_b32 v[10:11], 0, 0
	s_mov_b64 s[16:17], 0
.LBB7_640:                              ;   Parent Loop BB7_630 Depth=1
                                        ; =>  This Inner Loop Header: Depth=2
	s_add_u32 s20, s4, s16
	s_addc_u32 s21, s5, s17
	global_load_ubyte v2, v27, s[20:21]
	s_add_u32 s16, s16, 1
	s_addc_u32 s17, s17, 0
	s_waitcnt vmcnt(0)
	v_and_b32_e32 v26, 0xffff, v2
	v_lshlrev_b64 v[2:3], s14, v[26:27]
	s_add_u32 s14, s14, 8
	s_addc_u32 s15, s15, 0
	v_or_b32_e32 v10, v2, v10
	s_cmp_lg_u32 s18, s16
	v_or_b32_e32 v11, v3, v11
	s_cbranch_scc1 .LBB7_640
	s_branch .LBB7_643
.LBB7_641:                              ;   in Loop: Header=BB7_630 Depth=1
                                        ; implicit-def: $vgpr10_vgpr11
                                        ; implicit-def: $sgpr19
	s_branch .LBB7_644
.LBB7_642:                              ;   in Loop: Header=BB7_630 Depth=1
	v_pk_mov_b32 v[10:11], 0, 0
.LBB7_643:                              ;   in Loop: Header=BB7_630 Depth=1
	s_mov_b32 s19, 0
	s_cbranch_execnz .LBB7_645
.LBB7_644:                              ;   in Loop: Header=BB7_630 Depth=1
	global_load_dwordx2 v[10:11], v27, s[4:5]
	s_add_i32 s19, s18, -8
	s_add_u32 s4, s4, 8
	s_addc_u32 s5, s5, 0
.LBB7_645:                              ;   in Loop: Header=BB7_630 Depth=1
	s_cmp_gt_u32 s19, 7
	s_cbranch_scc1 .LBB7_649
; %bb.646:                              ;   in Loop: Header=BB7_630 Depth=1
	s_cmp_eq_u32 s19, 0
	s_cbranch_scc1 .LBB7_650
; %bb.647:                              ;   in Loop: Header=BB7_630 Depth=1
	s_mov_b64 s[14:15], 0
	v_pk_mov_b32 v[12:13], 0, 0
	s_mov_b64 s[16:17], 0
.LBB7_648:                              ;   Parent Loop BB7_630 Depth=1
                                        ; =>  This Inner Loop Header: Depth=2
	s_add_u32 s20, s4, s16
	s_addc_u32 s21, s5, s17
	global_load_ubyte v2, v27, s[20:21]
	s_add_u32 s16, s16, 1
	s_addc_u32 s17, s17, 0
	s_waitcnt vmcnt(0)
	v_and_b32_e32 v26, 0xffff, v2
	v_lshlrev_b64 v[2:3], s14, v[26:27]
	s_add_u32 s14, s14, 8
	s_addc_u32 s15, s15, 0
	v_or_b32_e32 v12, v2, v12
	s_cmp_lg_u32 s19, s16
	v_or_b32_e32 v13, v3, v13
	s_cbranch_scc1 .LBB7_648
	s_branch .LBB7_651
.LBB7_649:                              ;   in Loop: Header=BB7_630 Depth=1
                                        ; implicit-def: $sgpr18
	s_branch .LBB7_652
.LBB7_650:                              ;   in Loop: Header=BB7_630 Depth=1
	v_pk_mov_b32 v[12:13], 0, 0
.LBB7_651:                              ;   in Loop: Header=BB7_630 Depth=1
	s_mov_b32 s18, 0
	s_cbranch_execnz .LBB7_653
.LBB7_652:                              ;   in Loop: Header=BB7_630 Depth=1
	global_load_dwordx2 v[12:13], v27, s[4:5]
	s_add_i32 s18, s19, -8
	s_add_u32 s4, s4, 8
	s_addc_u32 s5, s5, 0
.LBB7_653:                              ;   in Loop: Header=BB7_630 Depth=1
	s_cmp_gt_u32 s18, 7
	s_cbranch_scc1 .LBB7_657
; %bb.654:                              ;   in Loop: Header=BB7_630 Depth=1
	s_cmp_eq_u32 s18, 0
	s_cbranch_scc1 .LBB7_658
; %bb.655:                              ;   in Loop: Header=BB7_630 Depth=1
	s_mov_b64 s[14:15], 0
	v_pk_mov_b32 v[14:15], 0, 0
	s_mov_b64 s[16:17], 0
.LBB7_656:                              ;   Parent Loop BB7_630 Depth=1
                                        ; =>  This Inner Loop Header: Depth=2
	s_add_u32 s20, s4, s16
	s_addc_u32 s21, s5, s17
	global_load_ubyte v2, v27, s[20:21]
	s_add_u32 s16, s16, 1
	s_addc_u32 s17, s17, 0
	s_waitcnt vmcnt(0)
	v_and_b32_e32 v26, 0xffff, v2
	v_lshlrev_b64 v[2:3], s14, v[26:27]
	s_add_u32 s14, s14, 8
	s_addc_u32 s15, s15, 0
	v_or_b32_e32 v14, v2, v14
	s_cmp_lg_u32 s18, s16
	v_or_b32_e32 v15, v3, v15
	s_cbranch_scc1 .LBB7_656
	s_branch .LBB7_659
.LBB7_657:                              ;   in Loop: Header=BB7_630 Depth=1
                                        ; implicit-def: $vgpr14_vgpr15
                                        ; implicit-def: $sgpr19
	s_branch .LBB7_660
.LBB7_658:                              ;   in Loop: Header=BB7_630 Depth=1
	v_pk_mov_b32 v[14:15], 0, 0
.LBB7_659:                              ;   in Loop: Header=BB7_630 Depth=1
	s_mov_b32 s19, 0
	s_cbranch_execnz .LBB7_661
.LBB7_660:                              ;   in Loop: Header=BB7_630 Depth=1
	global_load_dwordx2 v[14:15], v27, s[4:5]
	s_add_i32 s19, s18, -8
	s_add_u32 s4, s4, 8
	s_addc_u32 s5, s5, 0
.LBB7_661:                              ;   in Loop: Header=BB7_630 Depth=1
	s_cmp_gt_u32 s19, 7
	s_cbranch_scc1 .LBB7_665
; %bb.662:                              ;   in Loop: Header=BB7_630 Depth=1
	s_cmp_eq_u32 s19, 0
	s_cbranch_scc1 .LBB7_666
; %bb.663:                              ;   in Loop: Header=BB7_630 Depth=1
	s_mov_b64 s[14:15], 0
	v_pk_mov_b32 v[16:17], 0, 0
	s_mov_b64 s[16:17], 0
.LBB7_664:                              ;   Parent Loop BB7_630 Depth=1
                                        ; =>  This Inner Loop Header: Depth=2
	s_add_u32 s20, s4, s16
	s_addc_u32 s21, s5, s17
	global_load_ubyte v2, v27, s[20:21]
	s_add_u32 s16, s16, 1
	s_addc_u32 s17, s17, 0
	s_waitcnt vmcnt(0)
	v_and_b32_e32 v26, 0xffff, v2
	v_lshlrev_b64 v[2:3], s14, v[26:27]
	s_add_u32 s14, s14, 8
	s_addc_u32 s15, s15, 0
	v_or_b32_e32 v16, v2, v16
	s_cmp_lg_u32 s19, s16
	v_or_b32_e32 v17, v3, v17
	s_cbranch_scc1 .LBB7_664
	s_branch .LBB7_667
.LBB7_665:                              ;   in Loop: Header=BB7_630 Depth=1
                                        ; implicit-def: $sgpr18
	s_branch .LBB7_668
.LBB7_666:                              ;   in Loop: Header=BB7_630 Depth=1
	v_pk_mov_b32 v[16:17], 0, 0
.LBB7_667:                              ;   in Loop: Header=BB7_630 Depth=1
	s_mov_b32 s18, 0
	s_cbranch_execnz .LBB7_669
.LBB7_668:                              ;   in Loop: Header=BB7_630 Depth=1
	global_load_dwordx2 v[16:17], v27, s[4:5]
	s_add_i32 s18, s19, -8
	s_add_u32 s4, s4, 8
	s_addc_u32 s5, s5, 0
.LBB7_669:                              ;   in Loop: Header=BB7_630 Depth=1
	s_cmp_gt_u32 s18, 7
	s_cbranch_scc1 .LBB7_673
; %bb.670:                              ;   in Loop: Header=BB7_630 Depth=1
	s_cmp_eq_u32 s18, 0
	s_cbranch_scc1 .LBB7_674
; %bb.671:                              ;   in Loop: Header=BB7_630 Depth=1
	s_mov_b64 s[14:15], 0
	v_pk_mov_b32 v[18:19], 0, 0
	s_mov_b64 s[16:17], 0
.LBB7_672:                              ;   Parent Loop BB7_630 Depth=1
                                        ; =>  This Inner Loop Header: Depth=2
	s_add_u32 s20, s4, s16
	s_addc_u32 s21, s5, s17
	global_load_ubyte v2, v27, s[20:21]
	s_add_u32 s16, s16, 1
	s_addc_u32 s17, s17, 0
	s_waitcnt vmcnt(0)
	v_and_b32_e32 v26, 0xffff, v2
	v_lshlrev_b64 v[2:3], s14, v[26:27]
	s_add_u32 s14, s14, 8
	s_addc_u32 s15, s15, 0
	v_or_b32_e32 v18, v2, v18
	s_cmp_lg_u32 s18, s16
	v_or_b32_e32 v19, v3, v19
	s_cbranch_scc1 .LBB7_672
	s_branch .LBB7_675
.LBB7_673:                              ;   in Loop: Header=BB7_630 Depth=1
                                        ; implicit-def: $vgpr18_vgpr19
                                        ; implicit-def: $sgpr19
	s_branch .LBB7_676
.LBB7_674:                              ;   in Loop: Header=BB7_630 Depth=1
	v_pk_mov_b32 v[18:19], 0, 0
.LBB7_675:                              ;   in Loop: Header=BB7_630 Depth=1
	s_mov_b32 s19, 0
	s_cbranch_execnz .LBB7_677
.LBB7_676:                              ;   in Loop: Header=BB7_630 Depth=1
	global_load_dwordx2 v[18:19], v27, s[4:5]
	s_add_i32 s19, s18, -8
	s_add_u32 s4, s4, 8
	s_addc_u32 s5, s5, 0
.LBB7_677:                              ;   in Loop: Header=BB7_630 Depth=1
	s_cmp_gt_u32 s19, 7
	s_cbranch_scc1 .LBB7_681
; %bb.678:                              ;   in Loop: Header=BB7_630 Depth=1
	s_cmp_eq_u32 s19, 0
	s_cbranch_scc1 .LBB7_682
; %bb.679:                              ;   in Loop: Header=BB7_630 Depth=1
	s_mov_b64 s[14:15], 0
	v_pk_mov_b32 v[20:21], 0, 0
	s_mov_b64 s[16:17], s[4:5]
.LBB7_680:                              ;   Parent Loop BB7_630 Depth=1
                                        ; =>  This Inner Loop Header: Depth=2
	global_load_ubyte v2, v27, s[16:17]
	s_add_i32 s19, s19, -1
	s_waitcnt vmcnt(0)
	v_and_b32_e32 v26, 0xffff, v2
	v_lshlrev_b64 v[2:3], s14, v[26:27]
	s_add_u32 s14, s14, 8
	s_addc_u32 s15, s15, 0
	s_add_u32 s16, s16, 1
	s_addc_u32 s17, s17, 0
	v_or_b32_e32 v20, v2, v20
	s_cmp_lg_u32 s19, 0
	v_or_b32_e32 v21, v3, v21
	s_cbranch_scc1 .LBB7_680
	s_branch .LBB7_683
.LBB7_681:                              ;   in Loop: Header=BB7_630 Depth=1
	s_branch .LBB7_684
.LBB7_682:                              ;   in Loop: Header=BB7_630 Depth=1
	v_pk_mov_b32 v[20:21], 0, 0
.LBB7_683:                              ;   in Loop: Header=BB7_630 Depth=1
	s_cbranch_execnz .LBB7_685
.LBB7_684:                              ;   in Loop: Header=BB7_630 Depth=1
	global_load_dwordx2 v[20:21], v27, s[4:5]
.LBB7_685:                              ;   in Loop: Header=BB7_630 Depth=1
	v_readfirstlane_b32 s4, v31
	v_cmp_eq_u32_e64 s[4:5], s4, v31
	v_pk_mov_b32 v[2:3], 0, 0
	s_and_saveexec_b64 s[14:15], s[4:5]
	s_cbranch_execz .LBB7_691
; %bb.686:                              ;   in Loop: Header=BB7_630 Depth=1
	global_load_dwordx2 v[24:25], v27, s[6:7] offset:24 glc
	s_waitcnt vmcnt(0)
	buffer_invl2
	buffer_wbinvl1_vol
	global_load_dwordx2 v[2:3], v27, s[6:7] offset:40
	global_load_dwordx2 v[22:23], v27, s[6:7]
	s_waitcnt vmcnt(1)
	v_and_b32_e32 v2, v2, v24
	v_and_b32_e32 v3, v3, v25
	v_mul_lo_u32 v3, v3, 24
	v_mul_hi_u32 v26, v2, 24
	v_mul_lo_u32 v2, v2, 24
	v_add_u32_e32 v3, v26, v3
	s_waitcnt vmcnt(0)
	v_add_co_u32_e32 v2, vcc, v22, v2
	v_addc_co_u32_e32 v3, vcc, v23, v3, vcc
	global_load_dwordx2 v[22:23], v[2:3], off glc
	s_waitcnt vmcnt(0)
	global_atomic_cmpswap_x2 v[2:3], v27, v[22:25], s[6:7] offset:24 glc
	s_waitcnt vmcnt(0)
	buffer_invl2
	buffer_wbinvl1_vol
	v_cmp_ne_u64_e32 vcc, v[2:3], v[24:25]
	s_and_saveexec_b64 s[16:17], vcc
	s_cbranch_execz .LBB7_690
; %bb.687:                              ;   in Loop: Header=BB7_630 Depth=1
	s_mov_b64 s[18:19], 0
.LBB7_688:                              ;   Parent Loop BB7_630 Depth=1
                                        ; =>  This Inner Loop Header: Depth=2
	s_sleep 1
	global_load_dwordx2 v[22:23], v27, s[6:7] offset:40
	global_load_dwordx2 v[28:29], v27, s[6:7]
	v_pk_mov_b32 v[24:25], v[2:3], v[2:3] op_sel:[0,1]
	s_waitcnt vmcnt(1)
	v_and_b32_e32 v2, v22, v24
	s_waitcnt vmcnt(0)
	v_mad_u64_u32 v[2:3], s[20:21], v2, 24, v[28:29]
	v_and_b32_e32 v23, v23, v25
	v_mov_b32_e32 v22, v3
	v_mad_u64_u32 v[22:23], s[20:21], v23, 24, v[22:23]
	v_mov_b32_e32 v3, v22
	global_load_dwordx2 v[22:23], v[2:3], off glc
	s_waitcnt vmcnt(0)
	global_atomic_cmpswap_x2 v[2:3], v27, v[22:25], s[6:7] offset:24 glc
	s_waitcnt vmcnt(0)
	buffer_invl2
	buffer_wbinvl1_vol
	v_cmp_eq_u64_e32 vcc, v[2:3], v[24:25]
	s_or_b64 s[18:19], vcc, s[18:19]
	s_andn2_b64 exec, exec, s[18:19]
	s_cbranch_execnz .LBB7_688
; %bb.689:                              ;   in Loop: Header=BB7_630 Depth=1
	s_or_b64 exec, exec, s[18:19]
.LBB7_690:                              ;   in Loop: Header=BB7_630 Depth=1
	s_or_b64 exec, exec, s[16:17]
.LBB7_691:                              ;   in Loop: Header=BB7_630 Depth=1
	s_or_b64 exec, exec, s[14:15]
	global_load_dwordx2 v[28:29], v27, s[6:7] offset:40
	global_load_dwordx4 v[22:25], v27, s[6:7]
	v_readfirstlane_b32 s14, v2
	v_readfirstlane_b32 s15, v3
	s_mov_b64 s[16:17], exec
	s_waitcnt vmcnt(1)
	v_readfirstlane_b32 s18, v28
	v_readfirstlane_b32 s19, v29
	s_and_b64 s[18:19], s[14:15], s[18:19]
	s_mul_i32 s20, s19, 24
	s_mul_hi_u32 s21, s18, 24
	s_mul_i32 s22, s18, 24
	s_add_i32 s20, s21, s20
	v_mov_b32_e32 v2, s20
	s_waitcnt vmcnt(0)
	v_add_co_u32_e32 v28, vcc, s22, v22
	v_addc_co_u32_e32 v29, vcc, v23, v2, vcc
	s_and_saveexec_b64 s[20:21], s[4:5]
	s_cbranch_execz .LBB7_693
; %bb.692:                              ;   in Loop: Header=BB7_630 Depth=1
	v_pk_mov_b32 v[2:3], s[16:17], s[16:17] op_sel:[0,1]
	global_store_dwordx4 v[28:29], v[2:5], off offset:8
.LBB7_693:                              ;   in Loop: Header=BB7_630 Depth=1
	s_or_b64 exec, exec, s[20:21]
	s_lshl_b64 s[16:17], s[18:19], 12
	v_mov_b32_e32 v3, s17
	v_add_co_u32_e32 v2, vcc, s16, v24
	v_addc_co_u32_e32 v3, vcc, v25, v3, vcc
	v_or_b32_e32 v24, 2, v6
	v_cmp_gt_u64_e64 vcc, s[10:11], 56
	s_lshl_b32 s16, s12, 2
	v_cndmask_b32_e32 v6, v24, v6, vcc
	s_add_i32 s16, s16, 28
	s_and_b32 s16, s16, 0x1e0
	v_and_b32_e32 v6, 0xffffff1f, v6
	v_or_b32_e32 v6, s16, v6
	v_readfirstlane_b32 s16, v2
	v_readfirstlane_b32 s17, v3
	s_nop 4
	global_store_dwordx4 v30, v[6:9], s[16:17]
	global_store_dwordx4 v30, v[10:13], s[16:17] offset:16
	global_store_dwordx4 v30, v[14:17], s[16:17] offset:32
	global_store_dwordx4 v30, v[18:21], s[16:17] offset:48
	s_and_saveexec_b64 s[16:17], s[4:5]
	s_cbranch_execz .LBB7_701
; %bb.694:                              ;   in Loop: Header=BB7_630 Depth=1
	global_load_dwordx2 v[14:15], v27, s[6:7] offset:32 glc
	global_load_dwordx2 v[6:7], v27, s[6:7] offset:40
	v_mov_b32_e32 v12, s14
	v_mov_b32_e32 v13, s15
	s_waitcnt vmcnt(0)
	v_readfirstlane_b32 s18, v6
	v_readfirstlane_b32 s19, v7
	s_and_b64 s[18:19], s[18:19], s[14:15]
	s_mul_i32 s19, s19, 24
	s_mul_hi_u32 s20, s18, 24
	s_mul_i32 s18, s18, 24
	s_add_i32 s19, s20, s19
	v_mov_b32_e32 v6, s19
	v_add_co_u32_e32 v10, vcc, s18, v22
	v_addc_co_u32_e32 v11, vcc, v23, v6, vcc
	global_store_dwordx2 v[10:11], v[14:15], off
	buffer_wbl2
	s_waitcnt vmcnt(0)
	global_atomic_cmpswap_x2 v[8:9], v27, v[12:15], s[6:7] offset:32 glc
	s_waitcnt vmcnt(0)
	v_cmp_ne_u64_e32 vcc, v[8:9], v[14:15]
	s_and_saveexec_b64 s[18:19], vcc
	s_cbranch_execz .LBB7_697
; %bb.695:                              ;   in Loop: Header=BB7_630 Depth=1
	s_mov_b64 s[20:21], 0
.LBB7_696:                              ;   Parent Loop BB7_630 Depth=1
                                        ; =>  This Inner Loop Header: Depth=2
	s_sleep 1
	global_store_dwordx2 v[10:11], v[8:9], off
	v_mov_b32_e32 v6, s14
	v_mov_b32_e32 v7, s15
	buffer_wbl2
	s_waitcnt vmcnt(0)
	global_atomic_cmpswap_x2 v[6:7], v27, v[6:9], s[6:7] offset:32 glc
	s_waitcnt vmcnt(0)
	v_cmp_eq_u64_e32 vcc, v[6:7], v[8:9]
	s_or_b64 s[20:21], vcc, s[20:21]
	v_pk_mov_b32 v[8:9], v[6:7], v[6:7] op_sel:[0,1]
	s_andn2_b64 exec, exec, s[20:21]
	s_cbranch_execnz .LBB7_696
.LBB7_697:                              ;   in Loop: Header=BB7_630 Depth=1
	s_or_b64 exec, exec, s[18:19]
	global_load_dwordx2 v[6:7], v27, s[6:7] offset:16
	s_mov_b64 s[20:21], exec
	v_mbcnt_lo_u32_b32 v8, s20, 0
	v_mbcnt_hi_u32_b32 v8, s21, v8
	v_cmp_eq_u32_e32 vcc, 0, v8
	s_and_saveexec_b64 s[18:19], vcc
	s_cbranch_execz .LBB7_699
; %bb.698:                              ;   in Loop: Header=BB7_630 Depth=1
	s_bcnt1_i32_b64 s20, s[20:21]
	v_mov_b32_e32 v26, s20
	buffer_wbl2
	s_waitcnt vmcnt(0)
	global_atomic_add_x2 v[6:7], v[26:27], off offset:8
.LBB7_699:                              ;   in Loop: Header=BB7_630 Depth=1
	s_or_b64 exec, exec, s[18:19]
	s_waitcnt vmcnt(0)
	global_load_dwordx2 v[8:9], v[6:7], off offset:16
	s_waitcnt vmcnt(0)
	v_cmp_eq_u64_e32 vcc, 0, v[8:9]
	s_cbranch_vccnz .LBB7_701
; %bb.700:                              ;   in Loop: Header=BB7_630 Depth=1
	global_load_dword v26, v[6:7], off offset:24
	s_waitcnt vmcnt(0)
	v_and_b32_e32 v6, 0xffffff, v26
	v_readfirstlane_b32 m0, v6
	buffer_wbl2
	global_store_dwordx2 v[8:9], v[26:27], off
	s_sendmsg sendmsg(MSG_INTERRUPT)
.LBB7_701:                              ;   in Loop: Header=BB7_630 Depth=1
	s_or_b64 exec, exec, s[16:17]
	v_add_co_u32_e32 v2, vcc, v2, v30
	v_addc_co_u32_e32 v3, vcc, 0, v3, vcc
	s_branch .LBB7_705
.LBB7_702:                              ;   in Loop: Header=BB7_705 Depth=2
	s_or_b64 exec, exec, s[16:17]
	v_readfirstlane_b32 s16, v6
	s_cmp_eq_u32 s16, 0
	s_cbranch_scc1 .LBB7_704
; %bb.703:                              ;   in Loop: Header=BB7_705 Depth=2
	s_sleep 1
	s_cbranch_execnz .LBB7_705
	s_branch .LBB7_707
.LBB7_704:                              ;   in Loop: Header=BB7_630 Depth=1
	s_branch .LBB7_707
.LBB7_705:                              ;   Parent Loop BB7_630 Depth=1
                                        ; =>  This Inner Loop Header: Depth=2
	v_mov_b32_e32 v6, 1
	s_and_saveexec_b64 s[16:17], s[4:5]
	s_cbranch_execz .LBB7_702
; %bb.706:                              ;   in Loop: Header=BB7_705 Depth=2
	global_load_dword v6, v[28:29], off offset:20 glc
	s_waitcnt vmcnt(0)
	buffer_invl2
	buffer_wbinvl1_vol
	v_and_b32_e32 v6, 1, v6
	s_branch .LBB7_702
.LBB7_707:                              ;   in Loop: Header=BB7_630 Depth=1
	global_load_dwordx4 v[6:9], v[2:3], off
	s_and_saveexec_b64 s[16:17], s[4:5]
	s_cbranch_execz .LBB7_629
; %bb.708:                              ;   in Loop: Header=BB7_630 Depth=1
	global_load_dwordx2 v[2:3], v27, s[6:7] offset:40
	global_load_dwordx2 v[12:13], v27, s[6:7] offset:24 glc
	global_load_dwordx2 v[14:15], v27, s[6:7]
	s_waitcnt vmcnt(3)
	v_mov_b32_e32 v9, s15
	s_waitcnt vmcnt(2)
	v_add_co_u32_e32 v11, vcc, 1, v2
	v_addc_co_u32_e32 v16, vcc, 0, v3, vcc
	v_add_co_u32_e32 v8, vcc, s14, v11
	v_addc_co_u32_e32 v9, vcc, v16, v9, vcc
	v_cmp_eq_u64_e32 vcc, 0, v[8:9]
	v_cndmask_b32_e32 v9, v9, v16, vcc
	v_cndmask_b32_e32 v8, v8, v11, vcc
	v_and_b32_e32 v3, v9, v3
	v_and_b32_e32 v2, v8, v2
	v_mul_lo_u32 v3, v3, 24
	v_mul_hi_u32 v11, v2, 24
	v_mul_lo_u32 v2, v2, 24
	v_add_u32_e32 v3, v11, v3
	s_waitcnt vmcnt(0)
	v_add_co_u32_e32 v2, vcc, v14, v2
	v_addc_co_u32_e32 v3, vcc, v15, v3, vcc
	v_mov_b32_e32 v10, v12
	global_store_dwordx2 v[2:3], v[12:13], off
	v_mov_b32_e32 v11, v13
	buffer_wbl2
	s_waitcnt vmcnt(0)
	global_atomic_cmpswap_x2 v[10:11], v27, v[8:11], s[6:7] offset:24 glc
	s_waitcnt vmcnt(0)
	v_cmp_ne_u64_e32 vcc, v[10:11], v[12:13]
	s_and_b64 exec, exec, vcc
	s_cbranch_execz .LBB7_629
; %bb.709:                              ;   in Loop: Header=BB7_630 Depth=1
	s_mov_b64 s[4:5], 0
.LBB7_710:                              ;   Parent Loop BB7_630 Depth=1
                                        ; =>  This Inner Loop Header: Depth=2
	s_sleep 1
	global_store_dwordx2 v[2:3], v[10:11], off
	buffer_wbl2
	s_waitcnt vmcnt(0)
	global_atomic_cmpswap_x2 v[12:13], v27, v[8:11], s[6:7] offset:24 glc
	s_waitcnt vmcnt(0)
	v_cmp_eq_u64_e32 vcc, v[12:13], v[10:11]
	s_or_b64 s[4:5], vcc, s[4:5]
	v_pk_mov_b32 v[10:11], v[12:13], v[12:13] op_sel:[0,1]
	s_andn2_b64 exec, exec, s[4:5]
	s_cbranch_execnz .LBB7_710
	s_branch .LBB7_629
.LBB7_711:
	s_branch .LBB7_741
.LBB7_712:
	s_branch .LBB7_771
.LBB7_713:
	s_branch .LBB7_800
.LBB7_714:
	s_cbranch_execz .LBB7_741
; %bb.715:
	v_readfirstlane_b32 s4, v31
	v_cmp_eq_u32_e64 s[4:5], s4, v31
	s_waitcnt vmcnt(0)
	v_pk_mov_b32 v[8:9], 0, 0
	s_and_saveexec_b64 s[8:9], s[4:5]
	s_cbranch_execz .LBB7_721
; %bb.716:
	v_mov_b32_e32 v2, 0
	global_load_dwordx2 v[6:7], v2, s[6:7] offset:24 glc
	s_waitcnt vmcnt(0)
	buffer_invl2
	buffer_wbinvl1_vol
	global_load_dwordx2 v[4:5], v2, s[6:7] offset:40
	global_load_dwordx2 v[8:9], v2, s[6:7]
	s_waitcnt vmcnt(1)
	v_and_b32_e32 v3, v4, v6
	v_and_b32_e32 v4, v5, v7
	v_mul_lo_u32 v4, v4, 24
	v_mul_hi_u32 v5, v3, 24
	v_mul_lo_u32 v3, v3, 24
	v_add_u32_e32 v5, v5, v4
	s_waitcnt vmcnt(0)
	v_add_co_u32_e32 v4, vcc, v8, v3
	v_addc_co_u32_e32 v5, vcc, v9, v5, vcc
	global_load_dwordx2 v[4:5], v[4:5], off glc
	s_waitcnt vmcnt(0)
	global_atomic_cmpswap_x2 v[8:9], v2, v[4:7], s[6:7] offset:24 glc
	s_waitcnt vmcnt(0)
	buffer_invl2
	buffer_wbinvl1_vol
	v_cmp_ne_u64_e32 vcc, v[8:9], v[6:7]
	s_and_saveexec_b64 s[10:11], vcc
	s_cbranch_execz .LBB7_720
; %bb.717:
	s_mov_b64 s[12:13], 0
.LBB7_718:                              ; =>This Inner Loop Header: Depth=1
	s_sleep 1
	global_load_dwordx2 v[4:5], v2, s[6:7] offset:40
	global_load_dwordx2 v[10:11], v2, s[6:7]
	v_pk_mov_b32 v[6:7], v[8:9], v[8:9] op_sel:[0,1]
	s_waitcnt vmcnt(1)
	v_and_b32_e32 v4, v4, v6
	v_and_b32_e32 v3, v5, v7
	s_waitcnt vmcnt(0)
	v_mad_u64_u32 v[4:5], s[14:15], v4, 24, v[10:11]
	v_mov_b32_e32 v8, v5
	v_mad_u64_u32 v[8:9], s[14:15], v3, 24, v[8:9]
	v_mov_b32_e32 v5, v8
	global_load_dwordx2 v[4:5], v[4:5], off glc
	s_waitcnt vmcnt(0)
	global_atomic_cmpswap_x2 v[8:9], v2, v[4:7], s[6:7] offset:24 glc
	s_waitcnt vmcnt(0)
	buffer_invl2
	buffer_wbinvl1_vol
	v_cmp_eq_u64_e32 vcc, v[8:9], v[6:7]
	s_or_b64 s[12:13], vcc, s[12:13]
	s_andn2_b64 exec, exec, s[12:13]
	s_cbranch_execnz .LBB7_718
; %bb.719:
	s_or_b64 exec, exec, s[12:13]
.LBB7_720:
	s_or_b64 exec, exec, s[10:11]
.LBB7_721:
	s_or_b64 exec, exec, s[8:9]
	v_mov_b32_e32 v2, 0
	global_load_dwordx2 v[10:11], v2, s[6:7] offset:40
	global_load_dwordx4 v[4:7], v2, s[6:7]
	v_readfirstlane_b32 s8, v8
	v_readfirstlane_b32 s9, v9
	s_mov_b64 s[10:11], exec
	s_waitcnt vmcnt(1)
	v_readfirstlane_b32 s12, v10
	v_readfirstlane_b32 s13, v11
	s_and_b64 s[12:13], s[8:9], s[12:13]
	s_mul_i32 s14, s13, 24
	s_mul_hi_u32 s15, s12, 24
	s_mul_i32 s16, s12, 24
	s_add_i32 s14, s15, s14
	v_mov_b32_e32 v3, s14
	s_waitcnt vmcnt(0)
	v_add_co_u32_e32 v8, vcc, s16, v4
	v_addc_co_u32_e32 v9, vcc, v5, v3, vcc
	s_and_saveexec_b64 s[14:15], s[4:5]
	s_cbranch_execz .LBB7_723
; %bb.722:
	v_pk_mov_b32 v[10:11], s[10:11], s[10:11] op_sel:[0,1]
	v_mov_b32_e32 v12, 2
	v_mov_b32_e32 v13, 1
	global_store_dwordx4 v[8:9], v[10:13], off offset:8
.LBB7_723:
	s_or_b64 exec, exec, s[14:15]
	s_lshl_b64 s[10:11], s[12:13], 12
	v_mov_b32_e32 v3, s11
	v_add_co_u32_e32 v6, vcc, s10, v6
	v_addc_co_u32_e32 v7, vcc, v7, v3, vcc
	s_movk_i32 s10, 0xff1d
	s_mov_b32 s12, 0
	v_and_or_b32 v0, v0, s10, 34
	v_mov_b32_e32 v3, v2
	v_readfirstlane_b32 s10, v6
	v_readfirstlane_b32 s11, v7
	s_mov_b32 s13, s12
	s_mov_b32 s14, s12
	;; [unrolled: 1-line block ×3, first 2 shown]
	s_nop 1
	global_store_dwordx4 v30, v[0:3], s[10:11]
	s_nop 0
	v_pk_mov_b32 v[0:1], s[12:13], s[12:13] op_sel:[0,1]
	v_pk_mov_b32 v[2:3], s[14:15], s[14:15] op_sel:[0,1]
	global_store_dwordx4 v30, v[0:3], s[10:11] offset:16
	global_store_dwordx4 v30, v[0:3], s[10:11] offset:32
	;; [unrolled: 1-line block ×3, first 2 shown]
	s_and_saveexec_b64 s[10:11], s[4:5]
	s_cbranch_execz .LBB7_731
; %bb.724:
	v_mov_b32_e32 v6, 0
	global_load_dwordx2 v[12:13], v6, s[6:7] offset:32 glc
	global_load_dwordx2 v[0:1], v6, s[6:7] offset:40
	v_mov_b32_e32 v10, s8
	v_mov_b32_e32 v11, s9
	s_waitcnt vmcnt(0)
	v_readfirstlane_b32 s12, v0
	v_readfirstlane_b32 s13, v1
	s_and_b64 s[12:13], s[12:13], s[8:9]
	s_mul_i32 s13, s13, 24
	s_mul_hi_u32 s14, s12, 24
	s_mul_i32 s12, s12, 24
	s_add_i32 s13, s14, s13
	v_mov_b32_e32 v0, s13
	v_add_co_u32_e32 v4, vcc, s12, v4
	v_addc_co_u32_e32 v5, vcc, v5, v0, vcc
	global_store_dwordx2 v[4:5], v[12:13], off
	buffer_wbl2
	s_waitcnt vmcnt(0)
	global_atomic_cmpswap_x2 v[2:3], v6, v[10:13], s[6:7] offset:32 glc
	s_waitcnt vmcnt(0)
	v_cmp_ne_u64_e32 vcc, v[2:3], v[12:13]
	s_and_saveexec_b64 s[12:13], vcc
	s_cbranch_execz .LBB7_727
; %bb.725:
	s_mov_b64 s[14:15], 0
.LBB7_726:                              ; =>This Inner Loop Header: Depth=1
	s_sleep 1
	global_store_dwordx2 v[4:5], v[2:3], off
	v_mov_b32_e32 v0, s8
	v_mov_b32_e32 v1, s9
	buffer_wbl2
	s_waitcnt vmcnt(0)
	global_atomic_cmpswap_x2 v[0:1], v6, v[0:3], s[6:7] offset:32 glc
	s_waitcnt vmcnt(0)
	v_cmp_eq_u64_e32 vcc, v[0:1], v[2:3]
	s_or_b64 s[14:15], vcc, s[14:15]
	v_pk_mov_b32 v[2:3], v[0:1], v[0:1] op_sel:[0,1]
	s_andn2_b64 exec, exec, s[14:15]
	s_cbranch_execnz .LBB7_726
.LBB7_727:
	s_or_b64 exec, exec, s[12:13]
	v_mov_b32_e32 v3, 0
	global_load_dwordx2 v[0:1], v3, s[6:7] offset:16
	s_mov_b64 s[12:13], exec
	v_mbcnt_lo_u32_b32 v2, s12, 0
	v_mbcnt_hi_u32_b32 v2, s13, v2
	v_cmp_eq_u32_e32 vcc, 0, v2
	s_and_saveexec_b64 s[14:15], vcc
	s_cbranch_execz .LBB7_729
; %bb.728:
	s_bcnt1_i32_b64 s12, s[12:13]
	v_mov_b32_e32 v2, s12
	buffer_wbl2
	s_waitcnt vmcnt(0)
	global_atomic_add_x2 v[0:1], v[2:3], off offset:8
.LBB7_729:
	s_or_b64 exec, exec, s[14:15]
	s_waitcnt vmcnt(0)
	global_load_dwordx2 v[2:3], v[0:1], off offset:16
	s_waitcnt vmcnt(0)
	v_cmp_eq_u64_e32 vcc, 0, v[2:3]
	s_cbranch_vccnz .LBB7_731
; %bb.730:
	global_load_dword v0, v[0:1], off offset:24
	v_mov_b32_e32 v1, 0
	buffer_wbl2
	s_waitcnt vmcnt(0)
	global_store_dwordx2 v[2:3], v[0:1], off
	v_and_b32_e32 v0, 0xffffff, v0
	v_readfirstlane_b32 m0, v0
	s_sendmsg sendmsg(MSG_INTERRUPT)
.LBB7_731:
	s_or_b64 exec, exec, s[10:11]
	s_branch .LBB7_735
.LBB7_732:                              ;   in Loop: Header=BB7_735 Depth=1
	s_or_b64 exec, exec, s[10:11]
	v_readfirstlane_b32 s10, v0
	s_cmp_eq_u32 s10, 0
	s_cbranch_scc1 .LBB7_734
; %bb.733:                              ;   in Loop: Header=BB7_735 Depth=1
	s_sleep 1
	s_cbranch_execnz .LBB7_735
	s_branch .LBB7_737
.LBB7_734:
	s_branch .LBB7_737
.LBB7_735:                              ; =>This Inner Loop Header: Depth=1
	v_mov_b32_e32 v0, 1
	s_and_saveexec_b64 s[10:11], s[4:5]
	s_cbranch_execz .LBB7_732
; %bb.736:                              ;   in Loop: Header=BB7_735 Depth=1
	global_load_dword v0, v[8:9], off offset:20 glc
	s_waitcnt vmcnt(0)
	buffer_invl2
	buffer_wbinvl1_vol
	v_and_b32_e32 v0, 1, v0
	s_branch .LBB7_732
.LBB7_737:
	s_and_saveexec_b64 s[10:11], s[4:5]
	s_cbranch_execz .LBB7_740
; %bb.738:
	v_mov_b32_e32 v6, 0
	global_load_dwordx2 v[4:5], v6, s[6:7] offset:40
	global_load_dwordx2 v[8:9], v6, s[6:7] offset:24 glc
	global_load_dwordx2 v[10:11], v6, s[6:7]
	v_mov_b32_e32 v1, s9
	s_mov_b64 s[4:5], 0
	s_waitcnt vmcnt(2)
	v_add_co_u32_e32 v3, vcc, 1, v4
	v_addc_co_u32_e32 v7, vcc, 0, v5, vcc
	v_add_co_u32_e32 v0, vcc, s8, v3
	v_addc_co_u32_e32 v1, vcc, v7, v1, vcc
	v_cmp_eq_u64_e32 vcc, 0, v[0:1]
	v_cndmask_b32_e32 v1, v1, v7, vcc
	v_cndmask_b32_e32 v0, v0, v3, vcc
	v_and_b32_e32 v3, v1, v5
	v_and_b32_e32 v4, v0, v4
	v_mul_lo_u32 v3, v3, 24
	v_mul_hi_u32 v5, v4, 24
	v_mul_lo_u32 v4, v4, 24
	v_add_u32_e32 v3, v5, v3
	s_waitcnt vmcnt(0)
	v_add_co_u32_e32 v4, vcc, v10, v4
	v_addc_co_u32_e32 v5, vcc, v11, v3, vcc
	v_mov_b32_e32 v2, v8
	global_store_dwordx2 v[4:5], v[8:9], off
	v_mov_b32_e32 v3, v9
	buffer_wbl2
	s_waitcnt vmcnt(0)
	global_atomic_cmpswap_x2 v[2:3], v6, v[0:3], s[6:7] offset:24 glc
	s_waitcnt vmcnt(0)
	v_cmp_ne_u64_e32 vcc, v[2:3], v[8:9]
	s_and_b64 exec, exec, vcc
	s_cbranch_execz .LBB7_740
.LBB7_739:                              ; =>This Inner Loop Header: Depth=1
	s_sleep 1
	global_store_dwordx2 v[4:5], v[2:3], off
	buffer_wbl2
	s_waitcnt vmcnt(0)
	global_atomic_cmpswap_x2 v[8:9], v6, v[0:3], s[6:7] offset:24 glc
	s_waitcnt vmcnt(0)
	v_cmp_eq_u64_e32 vcc, v[8:9], v[2:3]
	s_or_b64 s[4:5], vcc, s[4:5]
	v_pk_mov_b32 v[2:3], v[8:9], v[8:9] op_sel:[0,1]
	s_andn2_b64 exec, exec, s[4:5]
	s_cbranch_execnz .LBB7_739
.LBB7_740:
	s_or_b64 exec, exec, s[10:11]
.LBB7_741:
	v_readlane_b32 s4, v120, 0
	v_readlane_b32 s5, v120, 1
	s_add_u32 s8, s4, 0x80
	s_addc_u32 s9, s5, 0
	s_getpc_b64 s[4:5]
	s_add_u32 s4, s4, .str.29@rel32@lo+4
	s_addc_u32 s5, s5, .str.29@rel32@hi+12
	s_getpc_b64 s[6:7]
	s_add_u32 s6, s6, .str.19@rel32@lo+4
	s_addc_u32 s7, s7, .str.19@rel32@hi+12
	s_getpc_b64 s[10:11]
	s_add_u32 s10, s10, __PRETTY_FUNCTION__._ZN7VecsMemIjLi8192EE5fetchEi@rel32@lo+4
	s_addc_u32 s11, s11, __PRETTY_FUNCTION__._ZN7VecsMemIjLi8192EE5fetchEi@rel32@hi+12
	s_waitcnt vmcnt(0)
	v_mov_b32_e32 v0, s4
	v_mov_b32_e32 v1, s5
	v_mov_b32_e32 v2, s6
	v_mov_b32_e32 v3, s7
	v_mov_b32_e32 v4, 12
	v_mov_b32_e32 v5, s10
	v_mov_b32_e32 v6, s11
	s_getpc_b64 s[12:13]
	s_add_u32 s12, s12, __assert_fail@rel32@lo+4
	s_addc_u32 s13, s13, __assert_fail@rel32@hi+12
	s_swappc_b64 s[30:31], s[12:13]
	s_or_b64 s[26:27], s[26:27], exec
	s_or_b64 exec, exec, s[66:67]
	s_and_saveexec_b64 s[4:5], s[64:65]
	s_xor_b64 s[64:65], exec, s[4:5]
	s_cbranch_execz .LBB7_352
.LBB7_742:
	v_readlane_b32 s4, v120, 0
	v_readlane_b32 s5, v120, 1
	s_add_u32 s8, s4, 0x80
	s_addc_u32 s9, s5, 0
	s_getpc_b64 s[4:5]
	s_add_u32 s4, s4, .str.18@rel32@lo+4
	s_addc_u32 s5, s5, .str.18@rel32@hi+12
	s_getpc_b64 s[6:7]
	s_add_u32 s6, s6, .str.19@rel32@lo+4
	s_addc_u32 s7, s7, .str.19@rel32@hi+12
	s_getpc_b64 s[10:11]
	s_add_u32 s10, s10, __PRETTY_FUNCTION__._ZN7VecsMemIjLi8192EE6shrinkEi@rel32@lo+4
	s_addc_u32 s11, s11, __PRETTY_FUNCTION__._ZN7VecsMemIjLi8192EE6shrinkEi@rel32@hi+12
	v_mov_b32_e32 v0, s4
	v_mov_b32_e32 v1, s5
	;; [unrolled: 1-line block ×6, first 2 shown]
	s_waitcnt vmcnt(0)
	v_mov_b32_e32 v6, s11
	s_getpc_b64 s[12:13]
	s_add_u32 s12, s12, __assert_fail@rel32@lo+4
	s_addc_u32 s13, s13, __assert_fail@rel32@hi+12
	s_swappc_b64 s[30:31], s[12:13]
	s_or_b64 s[26:27], s[26:27], exec
	s_or_b64 exec, exec, s[64:65]
	s_and_saveexec_b64 s[4:5], s[62:63]
	s_xor_b64 s[62:63], exec, s[4:5]
	s_cbranch_execz .LBB7_353
.LBB7_743:
	v_readlane_b32 s4, v120, 0
	v_readlane_b32 s5, v120, 1
	s_add_u32 s8, s4, 0x80
	s_addc_u32 s9, s5, 0
	s_getpc_b64 s[4:5]
	s_add_u32 s4, s4, .str.18@rel32@lo+4
	s_addc_u32 s5, s5, .str.18@rel32@hi+12
	s_getpc_b64 s[6:7]
	s_add_u32 s6, s6, .str.19@rel32@lo+4
	s_addc_u32 s7, s7, .str.19@rel32@hi+12
	s_getpc_b64 s[10:11]
	s_add_u32 s10, s10, __PRETTY_FUNCTION__._ZN7VecsMemIjLi8192EE6shrinkEi@rel32@lo+4
	s_addc_u32 s11, s11, __PRETTY_FUNCTION__._ZN7VecsMemIjLi8192EE6shrinkEi@rel32@hi+12
	v_mov_b32_e32 v0, s4
	v_mov_b32_e32 v1, s5
	;; [unrolled: 1-line block ×6, first 2 shown]
	s_waitcnt vmcnt(0)
	v_mov_b32_e32 v6, s11
	s_getpc_b64 s[12:13]
	s_add_u32 s12, s12, __assert_fail@rel32@lo+4
	s_addc_u32 s13, s13, __assert_fail@rel32@hi+12
	s_swappc_b64 s[30:31], s[12:13]
	s_or_b64 s[26:27], s[26:27], exec
	s_or_b64 exec, exec, s[62:63]
	s_and_saveexec_b64 s[4:5], s[60:61]
	s_xor_b64 s[60:61], exec, s[4:5]
	s_cbranch_execnz .LBB7_354
	s_branch .LBB7_355
.LBB7_744:
	s_cbranch_execz .LBB7_771
; %bb.745:
	v_readfirstlane_b32 s4, v31
	v_cmp_eq_u32_e64 s[4:5], s4, v31
	s_waitcnt vmcnt(0)
	v_pk_mov_b32 v[8:9], 0, 0
	s_and_saveexec_b64 s[8:9], s[4:5]
	s_cbranch_execz .LBB7_751
; %bb.746:
	v_mov_b32_e32 v2, 0
	global_load_dwordx2 v[6:7], v2, s[6:7] offset:24 glc
	s_waitcnt vmcnt(0)
	buffer_invl2
	buffer_wbinvl1_vol
	global_load_dwordx2 v[4:5], v2, s[6:7] offset:40
	global_load_dwordx2 v[8:9], v2, s[6:7]
	s_waitcnt vmcnt(1)
	v_and_b32_e32 v3, v4, v6
	v_and_b32_e32 v4, v5, v7
	v_mul_lo_u32 v4, v4, 24
	v_mul_hi_u32 v5, v3, 24
	v_mul_lo_u32 v3, v3, 24
	v_add_u32_e32 v5, v5, v4
	s_waitcnt vmcnt(0)
	v_add_co_u32_e32 v4, vcc, v8, v3
	v_addc_co_u32_e32 v5, vcc, v9, v5, vcc
	global_load_dwordx2 v[4:5], v[4:5], off glc
	s_waitcnt vmcnt(0)
	global_atomic_cmpswap_x2 v[8:9], v2, v[4:7], s[6:7] offset:24 glc
	s_waitcnt vmcnt(0)
	buffer_invl2
	buffer_wbinvl1_vol
	v_cmp_ne_u64_e32 vcc, v[8:9], v[6:7]
	s_and_saveexec_b64 s[10:11], vcc
	s_cbranch_execz .LBB7_750
; %bb.747:
	s_mov_b64 s[12:13], 0
.LBB7_748:                              ; =>This Inner Loop Header: Depth=1
	s_sleep 1
	global_load_dwordx2 v[4:5], v2, s[6:7] offset:40
	global_load_dwordx2 v[10:11], v2, s[6:7]
	v_pk_mov_b32 v[6:7], v[8:9], v[8:9] op_sel:[0,1]
	s_waitcnt vmcnt(1)
	v_and_b32_e32 v4, v4, v6
	v_and_b32_e32 v3, v5, v7
	s_waitcnt vmcnt(0)
	v_mad_u64_u32 v[4:5], s[14:15], v4, 24, v[10:11]
	v_mov_b32_e32 v8, v5
	v_mad_u64_u32 v[8:9], s[14:15], v3, 24, v[8:9]
	v_mov_b32_e32 v5, v8
	global_load_dwordx2 v[4:5], v[4:5], off glc
	s_waitcnt vmcnt(0)
	global_atomic_cmpswap_x2 v[8:9], v2, v[4:7], s[6:7] offset:24 glc
	s_waitcnt vmcnt(0)
	buffer_invl2
	buffer_wbinvl1_vol
	v_cmp_eq_u64_e32 vcc, v[8:9], v[6:7]
	s_or_b64 s[12:13], vcc, s[12:13]
	s_andn2_b64 exec, exec, s[12:13]
	s_cbranch_execnz .LBB7_748
; %bb.749:
	s_or_b64 exec, exec, s[12:13]
.LBB7_750:
	s_or_b64 exec, exec, s[10:11]
.LBB7_751:
	s_or_b64 exec, exec, s[8:9]
	v_mov_b32_e32 v2, 0
	global_load_dwordx2 v[10:11], v2, s[6:7] offset:40
	global_load_dwordx4 v[4:7], v2, s[6:7]
	v_readfirstlane_b32 s8, v8
	v_readfirstlane_b32 s9, v9
	s_mov_b64 s[10:11], exec
	s_waitcnt vmcnt(1)
	v_readfirstlane_b32 s12, v10
	v_readfirstlane_b32 s13, v11
	s_and_b64 s[12:13], s[8:9], s[12:13]
	s_mul_i32 s14, s13, 24
	s_mul_hi_u32 s15, s12, 24
	s_mul_i32 s16, s12, 24
	s_add_i32 s14, s15, s14
	v_mov_b32_e32 v3, s14
	s_waitcnt vmcnt(0)
	v_add_co_u32_e32 v8, vcc, s16, v4
	v_addc_co_u32_e32 v9, vcc, v5, v3, vcc
	s_and_saveexec_b64 s[14:15], s[4:5]
	s_cbranch_execz .LBB7_753
; %bb.752:
	v_pk_mov_b32 v[10:11], s[10:11], s[10:11] op_sel:[0,1]
	v_mov_b32_e32 v12, 2
	v_mov_b32_e32 v13, 1
	global_store_dwordx4 v[8:9], v[10:13], off offset:8
.LBB7_753:
	s_or_b64 exec, exec, s[14:15]
	s_lshl_b64 s[10:11], s[12:13], 12
	v_mov_b32_e32 v3, s11
	v_add_co_u32_e32 v6, vcc, s10, v6
	v_addc_co_u32_e32 v7, vcc, v7, v3, vcc
	s_movk_i32 s10, 0xff1d
	s_mov_b32 s12, 0
	v_and_or_b32 v0, v0, s10, 34
	v_mov_b32_e32 v3, v2
	v_readfirstlane_b32 s10, v6
	v_readfirstlane_b32 s11, v7
	s_mov_b32 s13, s12
	s_mov_b32 s14, s12
	;; [unrolled: 1-line block ×3, first 2 shown]
	s_nop 1
	global_store_dwordx4 v30, v[0:3], s[10:11]
	s_nop 0
	v_pk_mov_b32 v[0:1], s[12:13], s[12:13] op_sel:[0,1]
	v_pk_mov_b32 v[2:3], s[14:15], s[14:15] op_sel:[0,1]
	global_store_dwordx4 v30, v[0:3], s[10:11] offset:16
	global_store_dwordx4 v30, v[0:3], s[10:11] offset:32
	;; [unrolled: 1-line block ×3, first 2 shown]
	s_and_saveexec_b64 s[10:11], s[4:5]
	s_cbranch_execz .LBB7_761
; %bb.754:
	v_mov_b32_e32 v6, 0
	global_load_dwordx2 v[12:13], v6, s[6:7] offset:32 glc
	global_load_dwordx2 v[0:1], v6, s[6:7] offset:40
	v_mov_b32_e32 v10, s8
	v_mov_b32_e32 v11, s9
	s_waitcnt vmcnt(0)
	v_readfirstlane_b32 s12, v0
	v_readfirstlane_b32 s13, v1
	s_and_b64 s[12:13], s[12:13], s[8:9]
	s_mul_i32 s13, s13, 24
	s_mul_hi_u32 s14, s12, 24
	s_mul_i32 s12, s12, 24
	s_add_i32 s13, s14, s13
	v_mov_b32_e32 v0, s13
	v_add_co_u32_e32 v4, vcc, s12, v4
	v_addc_co_u32_e32 v5, vcc, v5, v0, vcc
	global_store_dwordx2 v[4:5], v[12:13], off
	buffer_wbl2
	s_waitcnt vmcnt(0)
	global_atomic_cmpswap_x2 v[2:3], v6, v[10:13], s[6:7] offset:32 glc
	s_waitcnt vmcnt(0)
	v_cmp_ne_u64_e32 vcc, v[2:3], v[12:13]
	s_and_saveexec_b64 s[12:13], vcc
	s_cbranch_execz .LBB7_757
; %bb.755:
	s_mov_b64 s[14:15], 0
.LBB7_756:                              ; =>This Inner Loop Header: Depth=1
	s_sleep 1
	global_store_dwordx2 v[4:5], v[2:3], off
	v_mov_b32_e32 v0, s8
	v_mov_b32_e32 v1, s9
	buffer_wbl2
	s_waitcnt vmcnt(0)
	global_atomic_cmpswap_x2 v[0:1], v6, v[0:3], s[6:7] offset:32 glc
	s_waitcnt vmcnt(0)
	v_cmp_eq_u64_e32 vcc, v[0:1], v[2:3]
	s_or_b64 s[14:15], vcc, s[14:15]
	v_pk_mov_b32 v[2:3], v[0:1], v[0:1] op_sel:[0,1]
	s_andn2_b64 exec, exec, s[14:15]
	s_cbranch_execnz .LBB7_756
.LBB7_757:
	s_or_b64 exec, exec, s[12:13]
	v_mov_b32_e32 v3, 0
	global_load_dwordx2 v[0:1], v3, s[6:7] offset:16
	s_mov_b64 s[12:13], exec
	v_mbcnt_lo_u32_b32 v2, s12, 0
	v_mbcnt_hi_u32_b32 v2, s13, v2
	v_cmp_eq_u32_e32 vcc, 0, v2
	s_and_saveexec_b64 s[14:15], vcc
	s_cbranch_execz .LBB7_759
; %bb.758:
	s_bcnt1_i32_b64 s12, s[12:13]
	v_mov_b32_e32 v2, s12
	buffer_wbl2
	s_waitcnt vmcnt(0)
	global_atomic_add_x2 v[0:1], v[2:3], off offset:8
.LBB7_759:
	s_or_b64 exec, exec, s[14:15]
	s_waitcnt vmcnt(0)
	global_load_dwordx2 v[2:3], v[0:1], off offset:16
	s_waitcnt vmcnt(0)
	v_cmp_eq_u64_e32 vcc, 0, v[2:3]
	s_cbranch_vccnz .LBB7_761
; %bb.760:
	global_load_dword v0, v[0:1], off offset:24
	v_mov_b32_e32 v1, 0
	buffer_wbl2
	s_waitcnt vmcnt(0)
	global_store_dwordx2 v[2:3], v[0:1], off
	v_and_b32_e32 v0, 0xffffff, v0
	v_readfirstlane_b32 m0, v0
	s_sendmsg sendmsg(MSG_INTERRUPT)
.LBB7_761:
	s_or_b64 exec, exec, s[10:11]
	s_branch .LBB7_765
.LBB7_762:                              ;   in Loop: Header=BB7_765 Depth=1
	s_or_b64 exec, exec, s[10:11]
	v_readfirstlane_b32 s10, v0
	s_cmp_eq_u32 s10, 0
	s_cbranch_scc1 .LBB7_764
; %bb.763:                              ;   in Loop: Header=BB7_765 Depth=1
	s_sleep 1
	s_cbranch_execnz .LBB7_765
	s_branch .LBB7_767
.LBB7_764:
	s_branch .LBB7_767
.LBB7_765:                              ; =>This Inner Loop Header: Depth=1
	v_mov_b32_e32 v0, 1
	s_and_saveexec_b64 s[10:11], s[4:5]
	s_cbranch_execz .LBB7_762
; %bb.766:                              ;   in Loop: Header=BB7_765 Depth=1
	global_load_dword v0, v[8:9], off offset:20 glc
	s_waitcnt vmcnt(0)
	buffer_invl2
	buffer_wbinvl1_vol
	v_and_b32_e32 v0, 1, v0
	s_branch .LBB7_762
.LBB7_767:
	s_and_saveexec_b64 s[10:11], s[4:5]
	s_cbranch_execz .LBB7_770
; %bb.768:
	v_mov_b32_e32 v6, 0
	global_load_dwordx2 v[4:5], v6, s[6:7] offset:40
	global_load_dwordx2 v[8:9], v6, s[6:7] offset:24 glc
	global_load_dwordx2 v[10:11], v6, s[6:7]
	v_mov_b32_e32 v1, s9
	s_mov_b64 s[4:5], 0
	s_waitcnt vmcnt(2)
	v_add_co_u32_e32 v3, vcc, 1, v4
	v_addc_co_u32_e32 v7, vcc, 0, v5, vcc
	v_add_co_u32_e32 v0, vcc, s8, v3
	v_addc_co_u32_e32 v1, vcc, v7, v1, vcc
	v_cmp_eq_u64_e32 vcc, 0, v[0:1]
	v_cndmask_b32_e32 v1, v1, v7, vcc
	v_cndmask_b32_e32 v0, v0, v3, vcc
	v_and_b32_e32 v3, v1, v5
	v_and_b32_e32 v4, v0, v4
	v_mul_lo_u32 v3, v3, 24
	v_mul_hi_u32 v5, v4, 24
	v_mul_lo_u32 v4, v4, 24
	v_add_u32_e32 v3, v5, v3
	s_waitcnt vmcnt(0)
	v_add_co_u32_e32 v4, vcc, v10, v4
	v_addc_co_u32_e32 v5, vcc, v11, v3, vcc
	v_mov_b32_e32 v2, v8
	global_store_dwordx2 v[4:5], v[8:9], off
	v_mov_b32_e32 v3, v9
	buffer_wbl2
	s_waitcnt vmcnt(0)
	global_atomic_cmpswap_x2 v[2:3], v6, v[0:3], s[6:7] offset:24 glc
	s_waitcnt vmcnt(0)
	v_cmp_ne_u64_e32 vcc, v[2:3], v[8:9]
	s_and_b64 exec, exec, vcc
	s_cbranch_execz .LBB7_770
.LBB7_769:                              ; =>This Inner Loop Header: Depth=1
	s_sleep 1
	global_store_dwordx2 v[4:5], v[2:3], off
	buffer_wbl2
	s_waitcnt vmcnt(0)
	global_atomic_cmpswap_x2 v[8:9], v6, v[0:3], s[6:7] offset:24 glc
	s_waitcnt vmcnt(0)
	v_cmp_eq_u64_e32 vcc, v[8:9], v[2:3]
	s_or_b64 s[4:5], vcc, s[4:5]
	v_pk_mov_b32 v[2:3], v[8:9], v[8:9] op_sel:[0,1]
	s_andn2_b64 exec, exec, s[4:5]
	s_cbranch_execnz .LBB7_769
.LBB7_770:
	s_or_b64 exec, exec, s[10:11]
.LBB7_771:
	v_readlane_b32 s4, v120, 0
	v_readlane_b32 s5, v120, 1
	s_add_u32 s8, s4, 0x80
	s_addc_u32 s9, s5, 0
	s_getpc_b64 s[4:5]
	s_add_u32 s4, s4, .str.29@rel32@lo+4
	s_addc_u32 s5, s5, .str.29@rel32@hi+12
	s_getpc_b64 s[6:7]
	s_add_u32 s6, s6, .str.19@rel32@lo+4
	s_addc_u32 s7, s7, .str.19@rel32@hi+12
	s_getpc_b64 s[10:11]
	s_add_u32 s10, s10, __PRETTY_FUNCTION__._ZN7VecsMemIjLi8192EE5fetchEi@rel32@lo+4
	s_addc_u32 s11, s11, __PRETTY_FUNCTION__._ZN7VecsMemIjLi8192EE5fetchEi@rel32@hi+12
	s_waitcnt vmcnt(0)
	v_mov_b32_e32 v0, s4
	v_mov_b32_e32 v1, s5
	;; [unrolled: 1-line block ×7, first 2 shown]
	s_getpc_b64 s[12:13]
	s_add_u32 s12, s12, __assert_fail@rel32@lo+4
	s_addc_u32 s13, s13, __assert_fail@rel32@hi+12
	s_swappc_b64 s[30:31], s[12:13]
	s_or_b64 s[26:27], s[26:27], exec
	s_or_b64 exec, exec, s[60:61]
	s_and_saveexec_b64 s[4:5], s[56:57]
	s_xor_b64 s[56:57], exec, s[4:5]
	s_cbranch_execz .LBB7_357
.LBB7_772:
	v_readlane_b32 s4, v120, 0
	v_readlane_b32 s5, v120, 1
	s_add_u32 s8, s4, 0x80
	s_addc_u32 s9, s5, 0
	s_getpc_b64 s[4:5]
	s_add_u32 s4, s4, .str.18@rel32@lo+4
	s_addc_u32 s5, s5, .str.18@rel32@hi+12
	s_getpc_b64 s[6:7]
	s_add_u32 s6, s6, .str.19@rel32@lo+4
	s_addc_u32 s7, s7, .str.19@rel32@hi+12
	s_getpc_b64 s[10:11]
	s_add_u32 s10, s10, __PRETTY_FUNCTION__._ZN7VecsMemIjLi8192EE6shrinkEi@rel32@lo+4
	s_addc_u32 s11, s11, __PRETTY_FUNCTION__._ZN7VecsMemIjLi8192EE6shrinkEi@rel32@hi+12
	v_mov_b32_e32 v0, s4
	v_mov_b32_e32 v1, s5
	;; [unrolled: 1-line block ×6, first 2 shown]
	s_waitcnt vmcnt(0)
	v_mov_b32_e32 v6, s11
	s_getpc_b64 s[12:13]
	s_add_u32 s12, s12, __assert_fail@rel32@lo+4
	s_addc_u32 s13, s13, __assert_fail@rel32@hi+12
	s_swappc_b64 s[30:31], s[12:13]
	s_or_b64 s[26:27], s[26:27], exec
	s_or_b64 exec, exec, s[56:57]
	s_and_saveexec_b64 s[4:5], s[54:55]
	s_xor_b64 s[54:55], exec, s[4:5]
	s_cbranch_execnz .LBB7_358
	s_branch .LBB7_359
.LBB7_773:
	s_cbranch_execz .LBB7_800
; %bb.774:
	v_readfirstlane_b32 s4, v31
	v_cmp_eq_u32_e64 s[4:5], s4, v31
	s_waitcnt vmcnt(0)
	v_pk_mov_b32 v[8:9], 0, 0
	s_and_saveexec_b64 s[8:9], s[4:5]
	s_cbranch_execz .LBB7_780
; %bb.775:
	v_mov_b32_e32 v2, 0
	global_load_dwordx2 v[6:7], v2, s[6:7] offset:24 glc
	s_waitcnt vmcnt(0)
	buffer_invl2
	buffer_wbinvl1_vol
	global_load_dwordx2 v[4:5], v2, s[6:7] offset:40
	global_load_dwordx2 v[8:9], v2, s[6:7]
	s_waitcnt vmcnt(1)
	v_and_b32_e32 v3, v4, v6
	v_and_b32_e32 v4, v5, v7
	v_mul_lo_u32 v4, v4, 24
	v_mul_hi_u32 v5, v3, 24
	v_mul_lo_u32 v3, v3, 24
	v_add_u32_e32 v5, v5, v4
	s_waitcnt vmcnt(0)
	v_add_co_u32_e32 v4, vcc, v8, v3
	v_addc_co_u32_e32 v5, vcc, v9, v5, vcc
	global_load_dwordx2 v[4:5], v[4:5], off glc
	s_waitcnt vmcnt(0)
	global_atomic_cmpswap_x2 v[8:9], v2, v[4:7], s[6:7] offset:24 glc
	s_waitcnt vmcnt(0)
	buffer_invl2
	buffer_wbinvl1_vol
	v_cmp_ne_u64_e32 vcc, v[8:9], v[6:7]
	s_and_saveexec_b64 s[10:11], vcc
	s_cbranch_execz .LBB7_779
; %bb.776:
	s_mov_b64 s[12:13], 0
.LBB7_777:                              ; =>This Inner Loop Header: Depth=1
	s_sleep 1
	global_load_dwordx2 v[4:5], v2, s[6:7] offset:40
	global_load_dwordx2 v[10:11], v2, s[6:7]
	v_pk_mov_b32 v[6:7], v[8:9], v[8:9] op_sel:[0,1]
	s_waitcnt vmcnt(1)
	v_and_b32_e32 v4, v4, v6
	v_and_b32_e32 v3, v5, v7
	s_waitcnt vmcnt(0)
	v_mad_u64_u32 v[4:5], s[14:15], v4, 24, v[10:11]
	v_mov_b32_e32 v8, v5
	v_mad_u64_u32 v[8:9], s[14:15], v3, 24, v[8:9]
	v_mov_b32_e32 v5, v8
	global_load_dwordx2 v[4:5], v[4:5], off glc
	s_waitcnt vmcnt(0)
	global_atomic_cmpswap_x2 v[8:9], v2, v[4:7], s[6:7] offset:24 glc
	s_waitcnt vmcnt(0)
	buffer_invl2
	buffer_wbinvl1_vol
	v_cmp_eq_u64_e32 vcc, v[8:9], v[6:7]
	s_or_b64 s[12:13], vcc, s[12:13]
	s_andn2_b64 exec, exec, s[12:13]
	s_cbranch_execnz .LBB7_777
; %bb.778:
	s_or_b64 exec, exec, s[12:13]
.LBB7_779:
	s_or_b64 exec, exec, s[10:11]
.LBB7_780:
	s_or_b64 exec, exec, s[8:9]
	v_mov_b32_e32 v2, 0
	global_load_dwordx2 v[10:11], v2, s[6:7] offset:40
	global_load_dwordx4 v[4:7], v2, s[6:7]
	v_readfirstlane_b32 s8, v8
	v_readfirstlane_b32 s9, v9
	s_mov_b64 s[10:11], exec
	s_waitcnt vmcnt(1)
	v_readfirstlane_b32 s12, v10
	v_readfirstlane_b32 s13, v11
	s_and_b64 s[12:13], s[8:9], s[12:13]
	s_mul_i32 s14, s13, 24
	s_mul_hi_u32 s15, s12, 24
	s_mul_i32 s16, s12, 24
	s_add_i32 s14, s15, s14
	v_mov_b32_e32 v3, s14
	s_waitcnt vmcnt(0)
	v_add_co_u32_e32 v8, vcc, s16, v4
	v_addc_co_u32_e32 v9, vcc, v5, v3, vcc
	s_and_saveexec_b64 s[14:15], s[4:5]
	s_cbranch_execz .LBB7_782
; %bb.781:
	v_pk_mov_b32 v[10:11], s[10:11], s[10:11] op_sel:[0,1]
	v_mov_b32_e32 v12, 2
	v_mov_b32_e32 v13, 1
	global_store_dwordx4 v[8:9], v[10:13], off offset:8
.LBB7_782:
	s_or_b64 exec, exec, s[14:15]
	s_lshl_b64 s[10:11], s[12:13], 12
	v_mov_b32_e32 v3, s11
	v_add_co_u32_e32 v6, vcc, s10, v6
	v_addc_co_u32_e32 v7, vcc, v7, v3, vcc
	s_movk_i32 s10, 0xff1d
	s_mov_b32 s12, 0
	v_and_or_b32 v0, v0, s10, 34
	v_mov_b32_e32 v3, v2
	v_readfirstlane_b32 s10, v6
	v_readfirstlane_b32 s11, v7
	s_mov_b32 s13, s12
	s_mov_b32 s14, s12
	s_mov_b32 s15, s12
	s_nop 1
	global_store_dwordx4 v30, v[0:3], s[10:11]
	s_nop 0
	v_pk_mov_b32 v[0:1], s[12:13], s[12:13] op_sel:[0,1]
	v_pk_mov_b32 v[2:3], s[14:15], s[14:15] op_sel:[0,1]
	global_store_dwordx4 v30, v[0:3], s[10:11] offset:16
	global_store_dwordx4 v30, v[0:3], s[10:11] offset:32
	global_store_dwordx4 v30, v[0:3], s[10:11] offset:48
	s_and_saveexec_b64 s[10:11], s[4:5]
	s_cbranch_execz .LBB7_790
; %bb.783:
	v_mov_b32_e32 v6, 0
	global_load_dwordx2 v[12:13], v6, s[6:7] offset:32 glc
	global_load_dwordx2 v[0:1], v6, s[6:7] offset:40
	v_mov_b32_e32 v10, s8
	v_mov_b32_e32 v11, s9
	s_waitcnt vmcnt(0)
	v_readfirstlane_b32 s12, v0
	v_readfirstlane_b32 s13, v1
	s_and_b64 s[12:13], s[12:13], s[8:9]
	s_mul_i32 s13, s13, 24
	s_mul_hi_u32 s14, s12, 24
	s_mul_i32 s12, s12, 24
	s_add_i32 s13, s14, s13
	v_mov_b32_e32 v0, s13
	v_add_co_u32_e32 v4, vcc, s12, v4
	v_addc_co_u32_e32 v5, vcc, v5, v0, vcc
	global_store_dwordx2 v[4:5], v[12:13], off
	buffer_wbl2
	s_waitcnt vmcnt(0)
	global_atomic_cmpswap_x2 v[2:3], v6, v[10:13], s[6:7] offset:32 glc
	s_waitcnt vmcnt(0)
	v_cmp_ne_u64_e32 vcc, v[2:3], v[12:13]
	s_and_saveexec_b64 s[12:13], vcc
	s_cbranch_execz .LBB7_786
; %bb.784:
	s_mov_b64 s[14:15], 0
.LBB7_785:                              ; =>This Inner Loop Header: Depth=1
	s_sleep 1
	global_store_dwordx2 v[4:5], v[2:3], off
	v_mov_b32_e32 v0, s8
	v_mov_b32_e32 v1, s9
	buffer_wbl2
	s_waitcnt vmcnt(0)
	global_atomic_cmpswap_x2 v[0:1], v6, v[0:3], s[6:7] offset:32 glc
	s_waitcnt vmcnt(0)
	v_cmp_eq_u64_e32 vcc, v[0:1], v[2:3]
	s_or_b64 s[14:15], vcc, s[14:15]
	v_pk_mov_b32 v[2:3], v[0:1], v[0:1] op_sel:[0,1]
	s_andn2_b64 exec, exec, s[14:15]
	s_cbranch_execnz .LBB7_785
.LBB7_786:
	s_or_b64 exec, exec, s[12:13]
	v_mov_b32_e32 v3, 0
	global_load_dwordx2 v[0:1], v3, s[6:7] offset:16
	s_mov_b64 s[12:13], exec
	v_mbcnt_lo_u32_b32 v2, s12, 0
	v_mbcnt_hi_u32_b32 v2, s13, v2
	v_cmp_eq_u32_e32 vcc, 0, v2
	s_and_saveexec_b64 s[14:15], vcc
	s_cbranch_execz .LBB7_788
; %bb.787:
	s_bcnt1_i32_b64 s12, s[12:13]
	v_mov_b32_e32 v2, s12
	buffer_wbl2
	s_waitcnt vmcnt(0)
	global_atomic_add_x2 v[0:1], v[2:3], off offset:8
.LBB7_788:
	s_or_b64 exec, exec, s[14:15]
	s_waitcnt vmcnt(0)
	global_load_dwordx2 v[2:3], v[0:1], off offset:16
	s_waitcnt vmcnt(0)
	v_cmp_eq_u64_e32 vcc, 0, v[2:3]
	s_cbranch_vccnz .LBB7_790
; %bb.789:
	global_load_dword v0, v[0:1], off offset:24
	v_mov_b32_e32 v1, 0
	buffer_wbl2
	s_waitcnt vmcnt(0)
	global_store_dwordx2 v[2:3], v[0:1], off
	v_and_b32_e32 v0, 0xffffff, v0
	v_readfirstlane_b32 m0, v0
	s_sendmsg sendmsg(MSG_INTERRUPT)
.LBB7_790:
	s_or_b64 exec, exec, s[10:11]
	s_branch .LBB7_794
.LBB7_791:                              ;   in Loop: Header=BB7_794 Depth=1
	s_or_b64 exec, exec, s[10:11]
	v_readfirstlane_b32 s10, v0
	s_cmp_eq_u32 s10, 0
	s_cbranch_scc1 .LBB7_793
; %bb.792:                              ;   in Loop: Header=BB7_794 Depth=1
	s_sleep 1
	s_cbranch_execnz .LBB7_794
	s_branch .LBB7_796
.LBB7_793:
	s_branch .LBB7_796
.LBB7_794:                              ; =>This Inner Loop Header: Depth=1
	v_mov_b32_e32 v0, 1
	s_and_saveexec_b64 s[10:11], s[4:5]
	s_cbranch_execz .LBB7_791
; %bb.795:                              ;   in Loop: Header=BB7_794 Depth=1
	global_load_dword v0, v[8:9], off offset:20 glc
	s_waitcnt vmcnt(0)
	buffer_invl2
	buffer_wbinvl1_vol
	v_and_b32_e32 v0, 1, v0
	s_branch .LBB7_791
.LBB7_796:
	s_and_saveexec_b64 s[10:11], s[4:5]
	s_cbranch_execz .LBB7_799
; %bb.797:
	v_mov_b32_e32 v6, 0
	global_load_dwordx2 v[4:5], v6, s[6:7] offset:40
	global_load_dwordx2 v[8:9], v6, s[6:7] offset:24 glc
	global_load_dwordx2 v[10:11], v6, s[6:7]
	v_mov_b32_e32 v1, s9
	s_mov_b64 s[4:5], 0
	s_waitcnt vmcnt(2)
	v_add_co_u32_e32 v3, vcc, 1, v4
	v_addc_co_u32_e32 v7, vcc, 0, v5, vcc
	v_add_co_u32_e32 v0, vcc, s8, v3
	v_addc_co_u32_e32 v1, vcc, v7, v1, vcc
	v_cmp_eq_u64_e32 vcc, 0, v[0:1]
	v_cndmask_b32_e32 v1, v1, v7, vcc
	v_cndmask_b32_e32 v0, v0, v3, vcc
	v_and_b32_e32 v3, v1, v5
	v_and_b32_e32 v4, v0, v4
	v_mul_lo_u32 v3, v3, 24
	v_mul_hi_u32 v5, v4, 24
	v_mul_lo_u32 v4, v4, 24
	v_add_u32_e32 v3, v5, v3
	s_waitcnt vmcnt(0)
	v_add_co_u32_e32 v4, vcc, v10, v4
	v_addc_co_u32_e32 v5, vcc, v11, v3, vcc
	v_mov_b32_e32 v2, v8
	global_store_dwordx2 v[4:5], v[8:9], off
	v_mov_b32_e32 v3, v9
	buffer_wbl2
	s_waitcnt vmcnt(0)
	global_atomic_cmpswap_x2 v[2:3], v6, v[0:3], s[6:7] offset:24 glc
	s_waitcnt vmcnt(0)
	v_cmp_ne_u64_e32 vcc, v[2:3], v[8:9]
	s_and_b64 exec, exec, vcc
	s_cbranch_execz .LBB7_799
.LBB7_798:                              ; =>This Inner Loop Header: Depth=1
	s_sleep 1
	global_store_dwordx2 v[4:5], v[2:3], off
	buffer_wbl2
	s_waitcnt vmcnt(0)
	global_atomic_cmpswap_x2 v[8:9], v6, v[0:3], s[6:7] offset:24 glc
	s_waitcnt vmcnt(0)
	v_cmp_eq_u64_e32 vcc, v[8:9], v[2:3]
	s_or_b64 s[4:5], vcc, s[4:5]
	v_pk_mov_b32 v[2:3], v[8:9], v[8:9] op_sel:[0,1]
	s_andn2_b64 exec, exec, s[4:5]
	s_cbranch_execnz .LBB7_798
.LBB7_799:
	s_or_b64 exec, exec, s[10:11]
.LBB7_800:
	v_readlane_b32 s4, v120, 0
	v_readlane_b32 s5, v120, 1
	s_add_u32 s8, s4, 0x80
	s_addc_u32 s9, s5, 0
	s_getpc_b64 s[4:5]
	s_add_u32 s4, s4, .str.29@rel32@lo+4
	s_addc_u32 s5, s5, .str.29@rel32@hi+12
	s_getpc_b64 s[6:7]
	s_add_u32 s6, s6, .str.19@rel32@lo+4
	s_addc_u32 s7, s7, .str.19@rel32@hi+12
	s_getpc_b64 s[10:11]
	s_add_u32 s10, s10, __PRETTY_FUNCTION__._ZN7VecsMemIjLi8192EE5fetchEi@rel32@lo+4
	s_addc_u32 s11, s11, __PRETTY_FUNCTION__._ZN7VecsMemIjLi8192EE5fetchEi@rel32@hi+12
	s_waitcnt vmcnt(0)
	v_mov_b32_e32 v0, s4
	v_mov_b32_e32 v1, s5
	;; [unrolled: 1-line block ×7, first 2 shown]
	s_getpc_b64 s[12:13]
	s_add_u32 s12, s12, __assert_fail@rel32@lo+4
	s_addc_u32 s13, s13, __assert_fail@rel32@hi+12
	s_swappc_b64 s[30:31], s[12:13]
	s_or_b64 s[26:27], s[26:27], exec
	s_or_b64 exec, exec, s[48:49]
	s_and_saveexec_b64 s[4:5], s[44:45]
	s_xor_b64 s[44:45], exec, s[4:5]
	s_cbranch_execz .LBB7_367
.LBB7_801:
	v_readlane_b32 s4, v120, 0
	v_readlane_b32 s5, v120, 1
	s_add_u32 s8, s4, 0x80
	s_addc_u32 s9, s5, 0
	s_getpc_b64 s[4:5]
	s_add_u32 s4, s4, .str.30@rel32@lo+4
	s_addc_u32 s5, s5, .str.30@rel32@hi+12
	s_getpc_b64 s[6:7]
	s_add_u32 s6, s6, .str.31@rel32@lo+4
	s_addc_u32 s7, s7, .str.31@rel32@hi+12
	s_getpc_b64 s[10:11]
	s_add_u32 s10, s10, __PRETTY_FUNCTION__._ZN3sop9sopFactorEPjiiPKiiP7VecsMemIjLi8192EEPN8subgUtil4SubgILi256EEE@rel32@lo+4
	s_addc_u32 s11, s11, __PRETTY_FUNCTION__._ZN3sop9sopFactorEPjiiPKiiP7VecsMemIjLi8192EEPN8subgUtil4SubgILi256EEE@rel32@hi+12
	v_mov_b32_e32 v0, s4
	v_mov_b32_e32 v1, s5
	;; [unrolled: 1-line block ×6, first 2 shown]
	s_waitcnt vmcnt(0)
	v_mov_b32_e32 v6, s11
	s_getpc_b64 s[12:13]
	s_add_u32 s12, s12, __assert_fail@rel32@lo+4
	s_addc_u32 s13, s13, __assert_fail@rel32@hi+12
	s_swappc_b64 s[30:31], s[12:13]
	s_or_b64 s[26:27], s[26:27], exec
	s_or_b64 exec, exec, s[44:45]
	s_and_saveexec_b64 s[44:45], s[42:43]
	s_cbranch_execz .LBB7_368
.LBB7_802:
	v_readlane_b32 s4, v120, 0
	v_readlane_b32 s5, v120, 1
	s_add_u32 s8, s4, 0x80
	s_addc_u32 s9, s5, 0
	s_getpc_b64 s[4:5]
	s_add_u32 s4, s4, .str.18@rel32@lo+4
	s_addc_u32 s5, s5, .str.18@rel32@hi+12
	s_getpc_b64 s[6:7]
	s_add_u32 s6, s6, .str.19@rel32@lo+4
	s_addc_u32 s7, s7, .str.19@rel32@hi+12
	s_getpc_b64 s[10:11]
	s_add_u32 s10, s10, __PRETTY_FUNCTION__._ZN7VecsMemIjLi8192EE6shrinkEi@rel32@lo+4
	s_addc_u32 s11, s11, __PRETTY_FUNCTION__._ZN7VecsMemIjLi8192EE6shrinkEi@rel32@hi+12
	v_mov_b32_e32 v0, s4
	v_mov_b32_e32 v1, s5
	;; [unrolled: 1-line block ×6, first 2 shown]
	s_waitcnt vmcnt(0)
	v_mov_b32_e32 v6, s11
	s_getpc_b64 s[12:13]
	s_add_u32 s12, s12, __assert_fail@rel32@lo+4
	s_addc_u32 s13, s13, __assert_fail@rel32@hi+12
	s_swappc_b64 s[30:31], s[12:13]
	s_or_b64 s[26:27], s[26:27], exec
	s_or_b64 exec, exec, s[44:45]
	s_and_saveexec_b64 s[4:5], s[40:41]
	s_xor_b64 s[40:41], exec, s[4:5]
	s_cbranch_execz .LBB7_369
.LBB7_803:
	v_readlane_b32 s4, v120, 0
	v_readlane_b32 s5, v120, 1
	s_add_u32 s8, s4, 0x80
	s_addc_u32 s9, s5, 0
	s_getpc_b64 s[4:5]
	s_add_u32 s4, s4, .str.18@rel32@lo+4
	s_addc_u32 s5, s5, .str.18@rel32@hi+12
	s_getpc_b64 s[6:7]
	s_add_u32 s6, s6, .str.19@rel32@lo+4
	s_addc_u32 s7, s7, .str.19@rel32@hi+12
	s_getpc_b64 s[10:11]
	s_add_u32 s10, s10, __PRETTY_FUNCTION__._ZN7VecsMemIjLi8192EE6shrinkEi@rel32@lo+4
	s_addc_u32 s11, s11, __PRETTY_FUNCTION__._ZN7VecsMemIjLi8192EE6shrinkEi@rel32@hi+12
	v_mov_b32_e32 v0, s4
	v_mov_b32_e32 v1, s5
	;; [unrolled: 1-line block ×6, first 2 shown]
	s_waitcnt vmcnt(0)
	v_mov_b32_e32 v6, s11
	s_getpc_b64 s[12:13]
	s_add_u32 s12, s12, __assert_fail@rel32@lo+4
	s_addc_u32 s13, s13, __assert_fail@rel32@hi+12
	s_swappc_b64 s[30:31], s[12:13]
	s_or_b64 s[26:27], s[26:27], exec
	s_or_b64 exec, exec, s[40:41]
	s_and_saveexec_b64 s[4:5], s[38:39]
	s_xor_b64 s[38:39], exec, s[4:5]
	s_cbranch_execz .LBB7_370
.LBB7_804:
	v_readlane_b32 s4, v120, 0
	v_readlane_b32 s5, v120, 1
	s_add_u32 s8, s4, 0x80
	s_addc_u32 s9, s5, 0
	s_getpc_b64 s[4:5]
	s_add_u32 s4, s4, .str.17@rel32@lo+4
	s_addc_u32 s5, s5, .str.17@rel32@hi+12
	s_getpc_b64 s[6:7]
	s_add_u32 s6, s6, .str.16@rel32@lo+4
	s_addc_u32 s7, s7, .str.16@rel32@hi+12
	s_getpc_b64 s[10:11]
	s_add_u32 s10, s10, __PRETTY_FUNCTION__._ZN3sop10minatoIsopEPKjiP7VecsMemIjLi8192EE@rel32@lo+4
	s_addc_u32 s11, s11, __PRETTY_FUNCTION__._ZN3sop10minatoIsopEPKjiP7VecsMemIjLi8192EE@rel32@hi+12
	v_mov_b32_e32 v0, s4
	v_mov_b32_e32 v1, s5
	;; [unrolled: 1-line block ×6, first 2 shown]
	s_waitcnt vmcnt(0)
	v_mov_b32_e32 v6, s11
	s_getpc_b64 s[12:13]
	s_add_u32 s12, s12, __assert_fail@rel32@lo+4
	s_addc_u32 s13, s13, __assert_fail@rel32@hi+12
	s_swappc_b64 s[30:31], s[12:13]
	s_or_b64 s[26:27], s[26:27], exec
	s_or_b64 exec, exec, s[38:39]
	s_and_saveexec_b64 s[38:39], s[36:37]
	s_cbranch_execz .LBB7_371
.LBB7_805:
	v_readlane_b32 s4, v120, 2
	v_readlane_b32 s5, v120, 3
	s_load_dwordx2 s[6:7], s[4:5], 0x50
	v_mbcnt_lo_u32_b32 v0, -1, 0
	v_mbcnt_hi_u32_b32 v31, -1, v0
	v_readfirstlane_b32 s4, v31
	v_cmp_eq_u32_e64 s[4:5], s4, v31
	s_waitcnt vmcnt(0)
	v_pk_mov_b32 v[6:7], 0, 0
	s_and_saveexec_b64 s[8:9], s[4:5]
	s_cbranch_execz .LBB7_811
; %bb.806:
	v_mov_b32_e32 v0, 0
	s_waitcnt lgkmcnt(0)
	global_load_dwordx2 v[4:5], v0, s[6:7] offset:24 glc
	s_waitcnt vmcnt(0)
	buffer_invl2
	buffer_wbinvl1_vol
	global_load_dwordx2 v[2:3], v0, s[6:7] offset:40
	global_load_dwordx2 v[6:7], v0, s[6:7]
	s_waitcnt vmcnt(1)
	v_and_b32_e32 v1, v2, v4
	v_and_b32_e32 v2, v3, v5
	v_mul_lo_u32 v2, v2, 24
	v_mul_hi_u32 v3, v1, 24
	v_mul_lo_u32 v1, v1, 24
	v_add_u32_e32 v3, v3, v2
	s_waitcnt vmcnt(0)
	v_add_co_u32_e32 v2, vcc, v6, v1
	v_addc_co_u32_e32 v3, vcc, v7, v3, vcc
	global_load_dwordx2 v[2:3], v[2:3], off glc
	s_waitcnt vmcnt(0)
	global_atomic_cmpswap_x2 v[6:7], v0, v[2:5], s[6:7] offset:24 glc
	s_waitcnt vmcnt(0)
	buffer_invl2
	buffer_wbinvl1_vol
	v_cmp_ne_u64_e32 vcc, v[6:7], v[4:5]
	s_and_saveexec_b64 s[10:11], vcc
	s_cbranch_execz .LBB7_810
; %bb.807:
	s_mov_b64 s[12:13], 0
.LBB7_808:                              ; =>This Inner Loop Header: Depth=1
	s_sleep 1
	global_load_dwordx2 v[2:3], v0, s[6:7] offset:40
	global_load_dwordx2 v[8:9], v0, s[6:7]
	v_pk_mov_b32 v[4:5], v[6:7], v[6:7] op_sel:[0,1]
	s_waitcnt vmcnt(1)
	v_and_b32_e32 v2, v2, v4
	v_and_b32_e32 v1, v3, v5
	s_waitcnt vmcnt(0)
	v_mad_u64_u32 v[2:3], s[14:15], v2, 24, v[8:9]
	v_mov_b32_e32 v6, v3
	v_mad_u64_u32 v[6:7], s[14:15], v1, 24, v[6:7]
	v_mov_b32_e32 v3, v6
	global_load_dwordx2 v[2:3], v[2:3], off glc
	s_waitcnt vmcnt(0)
	global_atomic_cmpswap_x2 v[6:7], v0, v[2:5], s[6:7] offset:24 glc
	s_waitcnt vmcnt(0)
	buffer_invl2
	buffer_wbinvl1_vol
	v_cmp_eq_u64_e32 vcc, v[6:7], v[4:5]
	s_or_b64 s[12:13], vcc, s[12:13]
	s_andn2_b64 exec, exec, s[12:13]
	s_cbranch_execnz .LBB7_808
; %bb.809:
	s_or_b64 exec, exec, s[12:13]
.LBB7_810:
	s_or_b64 exec, exec, s[10:11]
.LBB7_811:
	s_or_b64 exec, exec, s[8:9]
	v_mov_b32_e32 v5, 0
	s_waitcnt lgkmcnt(0)
	global_load_dwordx2 v[8:9], v5, s[6:7] offset:40
	global_load_dwordx4 v[0:3], v5, s[6:7]
	v_readfirstlane_b32 s8, v6
	v_readfirstlane_b32 s9, v7
	s_mov_b64 s[10:11], exec
	s_waitcnt vmcnt(1)
	v_readfirstlane_b32 s12, v8
	v_readfirstlane_b32 s13, v9
	s_and_b64 s[12:13], s[8:9], s[12:13]
	s_mul_i32 s14, s13, 24
	s_mul_hi_u32 s15, s12, 24
	s_mul_i32 s16, s12, 24
	s_add_i32 s14, s15, s14
	v_mov_b32_e32 v4, s14
	s_waitcnt vmcnt(0)
	v_add_co_u32_e32 v8, vcc, s16, v0
	v_addc_co_u32_e32 v9, vcc, v1, v4, vcc
	s_and_saveexec_b64 s[14:15], s[4:5]
	s_cbranch_execz .LBB7_813
; %bb.812:
	v_pk_mov_b32 v[10:11], s[10:11], s[10:11] op_sel:[0,1]
	v_mov_b32_e32 v12, 2
	v_mov_b32_e32 v13, 1
	global_store_dwordx4 v[8:9], v[10:13], off offset:8
.LBB7_813:
	s_or_b64 exec, exec, s[14:15]
	s_lshl_b64 s[10:11], s[12:13], 12
	v_mov_b32_e32 v4, s11
	v_add_co_u32_e32 v2, vcc, s10, v2
	v_addc_co_u32_e32 v3, vcc, v3, v4, vcc
	s_mov_b32 s12, 0
	v_lshlrev_b32_e32 v30, 6, v31
	v_add_co_u32_e32 v10, vcc, v2, v30
	v_mov_b32_e32 v4, 33
	v_mov_b32_e32 v6, v5
	;; [unrolled: 1-line block ×3, first 2 shown]
	v_readfirstlane_b32 s10, v2
	v_readfirstlane_b32 s11, v3
	s_mov_b32 s13, s12
	v_addc_co_u32_e32 v11, vcc, 0, v3, vcc
	s_mov_b32 s14, s12
	s_mov_b32 s15, s12
	s_nop 0
	global_store_dwordx4 v30, v[4:7], s[10:11]
	v_pk_mov_b32 v[2:3], s[12:13], s[12:13] op_sel:[0,1]
	v_pk_mov_b32 v[4:5], s[14:15], s[14:15] op_sel:[0,1]
	global_store_dwordx4 v30, v[2:5], s[10:11] offset:16
	global_store_dwordx4 v30, v[2:5], s[10:11] offset:32
	;; [unrolled: 1-line block ×3, first 2 shown]
	s_and_saveexec_b64 s[10:11], s[4:5]
	s_cbranch_execz .LBB7_821
; %bb.814:
	v_mov_b32_e32 v6, 0
	global_load_dwordx2 v[14:15], v6, s[6:7] offset:32 glc
	global_load_dwordx2 v[2:3], v6, s[6:7] offset:40
	v_mov_b32_e32 v12, s8
	v_mov_b32_e32 v13, s9
	s_waitcnt vmcnt(0)
	v_and_b32_e32 v2, s8, v2
	v_and_b32_e32 v3, s9, v3
	v_mul_lo_u32 v3, v3, 24
	v_mul_hi_u32 v4, v2, 24
	v_mul_lo_u32 v2, v2, 24
	v_add_u32_e32 v3, v4, v3
	v_add_co_u32_e32 v4, vcc, v0, v2
	v_addc_co_u32_e32 v5, vcc, v1, v3, vcc
	global_store_dwordx2 v[4:5], v[14:15], off
	buffer_wbl2
	s_waitcnt vmcnt(0)
	global_atomic_cmpswap_x2 v[2:3], v6, v[12:15], s[6:7] offset:32 glc
	s_waitcnt vmcnt(0)
	v_cmp_ne_u64_e32 vcc, v[2:3], v[14:15]
	s_and_saveexec_b64 s[12:13], vcc
	s_cbranch_execz .LBB7_817
; %bb.815:
	s_mov_b64 s[14:15], 0
.LBB7_816:                              ; =>This Inner Loop Header: Depth=1
	s_sleep 1
	global_store_dwordx2 v[4:5], v[2:3], off
	v_mov_b32_e32 v0, s8
	v_mov_b32_e32 v1, s9
	buffer_wbl2
	s_waitcnt vmcnt(0)
	global_atomic_cmpswap_x2 v[0:1], v6, v[0:3], s[6:7] offset:32 glc
	s_waitcnt vmcnt(0)
	v_cmp_eq_u64_e32 vcc, v[0:1], v[2:3]
	s_or_b64 s[14:15], vcc, s[14:15]
	v_pk_mov_b32 v[2:3], v[0:1], v[0:1] op_sel:[0,1]
	s_andn2_b64 exec, exec, s[14:15]
	s_cbranch_execnz .LBB7_816
.LBB7_817:
	s_or_b64 exec, exec, s[12:13]
	v_mov_b32_e32 v3, 0
	global_load_dwordx2 v[0:1], v3, s[6:7] offset:16
	s_mov_b64 s[12:13], exec
	v_mbcnt_lo_u32_b32 v2, s12, 0
	v_mbcnt_hi_u32_b32 v2, s13, v2
	v_cmp_eq_u32_e32 vcc, 0, v2
	s_and_saveexec_b64 s[14:15], vcc
	s_cbranch_execz .LBB7_819
; %bb.818:
	s_bcnt1_i32_b64 s12, s[12:13]
	v_mov_b32_e32 v2, s12
	buffer_wbl2
	s_waitcnt vmcnt(0)
	global_atomic_add_x2 v[0:1], v[2:3], off offset:8
.LBB7_819:
	s_or_b64 exec, exec, s[14:15]
	s_waitcnt vmcnt(0)
	global_load_dwordx2 v[2:3], v[0:1], off offset:16
	s_waitcnt vmcnt(0)
	v_cmp_eq_u64_e32 vcc, 0, v[2:3]
	s_cbranch_vccnz .LBB7_821
; %bb.820:
	global_load_dword v0, v[0:1], off offset:24
	v_mov_b32_e32 v1, 0
	buffer_wbl2
	s_waitcnt vmcnt(0)
	global_store_dwordx2 v[2:3], v[0:1], off
	v_and_b32_e32 v0, 0xffffff, v0
	v_readfirstlane_b32 m0, v0
	s_sendmsg sendmsg(MSG_INTERRUPT)
.LBB7_821:
	s_or_b64 exec, exec, s[10:11]
	s_branch .LBB7_825
.LBB7_822:                              ;   in Loop: Header=BB7_825 Depth=1
	s_or_b64 exec, exec, s[10:11]
	v_readfirstlane_b32 s10, v0
	s_cmp_eq_u32 s10, 0
	s_cbranch_scc1 .LBB7_824
; %bb.823:                              ;   in Loop: Header=BB7_825 Depth=1
	s_sleep 1
	s_cbranch_execnz .LBB7_825
	s_branch .LBB7_827
.LBB7_824:
	s_branch .LBB7_827
.LBB7_825:                              ; =>This Inner Loop Header: Depth=1
	v_mov_b32_e32 v0, 1
	s_and_saveexec_b64 s[10:11], s[4:5]
	s_cbranch_execz .LBB7_822
; %bb.826:                              ;   in Loop: Header=BB7_825 Depth=1
	global_load_dword v0, v[8:9], off offset:20 glc
	s_waitcnt vmcnt(0)
	buffer_invl2
	buffer_wbinvl1_vol
	v_and_b32_e32 v0, 1, v0
	s_branch .LBB7_822
.LBB7_827:
	global_load_dwordx2 v[0:1], v[10:11], off
	s_and_saveexec_b64 s[10:11], s[4:5]
	s_cbranch_execz .LBB7_830
; %bb.828:
	v_mov_b32_e32 v8, 0
	global_load_dwordx2 v[6:7], v8, s[6:7] offset:40
	global_load_dwordx2 v[10:11], v8, s[6:7] offset:24 glc
	global_load_dwordx2 v[12:13], v8, s[6:7]
	v_mov_b32_e32 v3, s9
	s_mov_b64 s[4:5], 0
	s_waitcnt vmcnt(2)
	v_add_co_u32_e32 v5, vcc, 1, v6
	v_addc_co_u32_e32 v9, vcc, 0, v7, vcc
	v_add_co_u32_e32 v2, vcc, s8, v5
	v_addc_co_u32_e32 v3, vcc, v9, v3, vcc
	v_cmp_eq_u64_e32 vcc, 0, v[2:3]
	v_cndmask_b32_e32 v3, v3, v9, vcc
	v_cndmask_b32_e32 v2, v2, v5, vcc
	v_and_b32_e32 v5, v3, v7
	v_and_b32_e32 v6, v2, v6
	v_mul_lo_u32 v5, v5, 24
	v_mul_hi_u32 v7, v6, 24
	v_mul_lo_u32 v6, v6, 24
	v_add_u32_e32 v5, v7, v5
	s_waitcnt vmcnt(0)
	v_add_co_u32_e32 v6, vcc, v12, v6
	v_addc_co_u32_e32 v7, vcc, v13, v5, vcc
	v_mov_b32_e32 v4, v10
	global_store_dwordx2 v[6:7], v[10:11], off
	v_mov_b32_e32 v5, v11
	buffer_wbl2
	s_waitcnt vmcnt(0)
	global_atomic_cmpswap_x2 v[4:5], v8, v[2:5], s[6:7] offset:24 glc
	s_waitcnt vmcnt(0)
	v_cmp_ne_u64_e32 vcc, v[4:5], v[10:11]
	s_and_b64 exec, exec, vcc
	s_cbranch_execz .LBB7_830
.LBB7_829:                              ; =>This Inner Loop Header: Depth=1
	s_sleep 1
	global_store_dwordx2 v[6:7], v[4:5], off
	buffer_wbl2
	s_waitcnt vmcnt(0)
	global_atomic_cmpswap_x2 v[10:11], v8, v[2:5], s[6:7] offset:24 glc
	s_waitcnt vmcnt(0)
	v_cmp_eq_u64_e32 vcc, v[10:11], v[4:5]
	s_or_b64 s[4:5], vcc, s[4:5]
	v_pk_mov_b32 v[4:5], v[10:11], v[10:11] op_sel:[0,1]
	s_andn2_b64 exec, exec, s[4:5]
	s_cbranch_execnz .LBB7_829
.LBB7_830:
	s_or_b64 exec, exec, s[10:11]
	s_getpc_b64 s[8:9]
	s_add_u32 s8, s8, .str.28@rel32@lo+4
	s_addc_u32 s9, s9, .str.28@rel32@hi+12
	s_cmp_lg_u64 s[8:9], 0
	s_cbranch_scc0 .LBB7_915
; %bb.831:
	s_waitcnt vmcnt(0)
	v_and_b32_e32 v6, -3, v0
	v_mov_b32_e32 v7, v1
	s_mov_b64 s[10:11], 35
	v_mov_b32_e32 v27, 0
	v_mov_b32_e32 v4, 2
	;; [unrolled: 1-line block ×3, first 2 shown]
	s_branch .LBB7_833
.LBB7_832:                              ;   in Loop: Header=BB7_833 Depth=1
	s_or_b64 exec, exec, s[16:17]
	s_sub_u32 s10, s10, s12
	s_subb_u32 s11, s11, s13
	s_add_u32 s8, s8, s12
	s_addc_u32 s9, s9, s13
	s_cmp_lg_u64 s[10:11], 0
	s_cbranch_scc0 .LBB7_914
.LBB7_833:                              ; =>This Loop Header: Depth=1
                                        ;     Child Loop BB7_836 Depth 2
                                        ;     Child Loop BB7_843 Depth 2
                                        ;     Child Loop BB7_851 Depth 2
                                        ;     Child Loop BB7_859 Depth 2
                                        ;     Child Loop BB7_867 Depth 2
                                        ;     Child Loop BB7_875 Depth 2
                                        ;     Child Loop BB7_883 Depth 2
                                        ;     Child Loop BB7_891 Depth 2
                                        ;     Child Loop BB7_899 Depth 2
                                        ;     Child Loop BB7_908 Depth 2
                                        ;     Child Loop BB7_913 Depth 2
	v_cmp_lt_u64_e64 s[4:5], s[10:11], 56
	s_and_b64 s[4:5], s[4:5], exec
	v_cmp_gt_u64_e64 s[4:5], s[10:11], 7
	s_cselect_b32 s13, s11, 0
	s_cselect_b32 s12, s10, 56
	s_and_b64 vcc, exec, s[4:5]
	s_cbranch_vccnz .LBB7_838
; %bb.834:                              ;   in Loop: Header=BB7_833 Depth=1
	s_mov_b64 s[4:5], 0
	s_cmp_eq_u64 s[10:11], 0
	s_waitcnt vmcnt(0)
	v_pk_mov_b32 v[8:9], 0, 0
	s_cbranch_scc1 .LBB7_837
; %bb.835:                              ;   in Loop: Header=BB7_833 Depth=1
	s_lshl_b64 s[14:15], s[12:13], 3
	s_mov_b64 s[16:17], 0
	v_pk_mov_b32 v[8:9], 0, 0
	s_mov_b64 s[18:19], s[8:9]
.LBB7_836:                              ;   Parent Loop BB7_833 Depth=1
                                        ; =>  This Inner Loop Header: Depth=2
	global_load_ubyte v2, v27, s[18:19]
	s_waitcnt vmcnt(0)
	v_and_b32_e32 v26, 0xffff, v2
	v_lshlrev_b64 v[2:3], s16, v[26:27]
	s_add_u32 s16, s16, 8
	s_addc_u32 s17, s17, 0
	s_add_u32 s18, s18, 1
	s_addc_u32 s19, s19, 0
	v_or_b32_e32 v8, v2, v8
	s_cmp_lg_u32 s14, s16
	v_or_b32_e32 v9, v3, v9
	s_cbranch_scc1 .LBB7_836
.LBB7_837:                              ;   in Loop: Header=BB7_833 Depth=1
	s_mov_b32 s18, 0
	s_andn2_b64 vcc, exec, s[4:5]
	s_mov_b64 s[4:5], s[8:9]
	s_cbranch_vccz .LBB7_839
	s_branch .LBB7_840
.LBB7_838:                              ;   in Loop: Header=BB7_833 Depth=1
                                        ; implicit-def: $sgpr18
	s_mov_b64 s[4:5], s[8:9]
.LBB7_839:                              ;   in Loop: Header=BB7_833 Depth=1
	global_load_dwordx2 v[8:9], v27, s[8:9]
	s_add_i32 s18, s12, -8
	s_add_u32 s4, s8, 8
	s_addc_u32 s5, s9, 0
.LBB7_840:                              ;   in Loop: Header=BB7_833 Depth=1
	s_cmp_gt_u32 s18, 7
	s_cbranch_scc1 .LBB7_844
; %bb.841:                              ;   in Loop: Header=BB7_833 Depth=1
	s_cmp_eq_u32 s18, 0
	s_cbranch_scc1 .LBB7_845
; %bb.842:                              ;   in Loop: Header=BB7_833 Depth=1
	s_mov_b64 s[14:15], 0
	v_pk_mov_b32 v[10:11], 0, 0
	s_mov_b64 s[16:17], 0
.LBB7_843:                              ;   Parent Loop BB7_833 Depth=1
                                        ; =>  This Inner Loop Header: Depth=2
	s_add_u32 s20, s4, s16
	s_addc_u32 s21, s5, s17
	global_load_ubyte v2, v27, s[20:21]
	s_add_u32 s16, s16, 1
	s_addc_u32 s17, s17, 0
	s_waitcnt vmcnt(0)
	v_and_b32_e32 v26, 0xffff, v2
	v_lshlrev_b64 v[2:3], s14, v[26:27]
	s_add_u32 s14, s14, 8
	s_addc_u32 s15, s15, 0
	v_or_b32_e32 v10, v2, v10
	s_cmp_lg_u32 s18, s16
	v_or_b32_e32 v11, v3, v11
	s_cbranch_scc1 .LBB7_843
	s_branch .LBB7_846
.LBB7_844:                              ;   in Loop: Header=BB7_833 Depth=1
                                        ; implicit-def: $vgpr10_vgpr11
                                        ; implicit-def: $sgpr19
	s_branch .LBB7_847
.LBB7_845:                              ;   in Loop: Header=BB7_833 Depth=1
	v_pk_mov_b32 v[10:11], 0, 0
.LBB7_846:                              ;   in Loop: Header=BB7_833 Depth=1
	s_mov_b32 s19, 0
	s_cbranch_execnz .LBB7_848
.LBB7_847:                              ;   in Loop: Header=BB7_833 Depth=1
	global_load_dwordx2 v[10:11], v27, s[4:5]
	s_add_i32 s19, s18, -8
	s_add_u32 s4, s4, 8
	s_addc_u32 s5, s5, 0
.LBB7_848:                              ;   in Loop: Header=BB7_833 Depth=1
	s_cmp_gt_u32 s19, 7
	s_cbranch_scc1 .LBB7_852
; %bb.849:                              ;   in Loop: Header=BB7_833 Depth=1
	s_cmp_eq_u32 s19, 0
	s_cbranch_scc1 .LBB7_853
; %bb.850:                              ;   in Loop: Header=BB7_833 Depth=1
	s_mov_b64 s[14:15], 0
	v_pk_mov_b32 v[12:13], 0, 0
	s_mov_b64 s[16:17], 0
.LBB7_851:                              ;   Parent Loop BB7_833 Depth=1
                                        ; =>  This Inner Loop Header: Depth=2
	s_add_u32 s20, s4, s16
	s_addc_u32 s21, s5, s17
	global_load_ubyte v2, v27, s[20:21]
	s_add_u32 s16, s16, 1
	s_addc_u32 s17, s17, 0
	s_waitcnt vmcnt(0)
	v_and_b32_e32 v26, 0xffff, v2
	v_lshlrev_b64 v[2:3], s14, v[26:27]
	s_add_u32 s14, s14, 8
	s_addc_u32 s15, s15, 0
	v_or_b32_e32 v12, v2, v12
	s_cmp_lg_u32 s19, s16
	v_or_b32_e32 v13, v3, v13
	s_cbranch_scc1 .LBB7_851
	s_branch .LBB7_854
.LBB7_852:                              ;   in Loop: Header=BB7_833 Depth=1
                                        ; implicit-def: $sgpr18
	s_branch .LBB7_855
.LBB7_853:                              ;   in Loop: Header=BB7_833 Depth=1
	v_pk_mov_b32 v[12:13], 0, 0
.LBB7_854:                              ;   in Loop: Header=BB7_833 Depth=1
	s_mov_b32 s18, 0
	s_cbranch_execnz .LBB7_856
.LBB7_855:                              ;   in Loop: Header=BB7_833 Depth=1
	global_load_dwordx2 v[12:13], v27, s[4:5]
	s_add_i32 s18, s19, -8
	s_add_u32 s4, s4, 8
	s_addc_u32 s5, s5, 0
.LBB7_856:                              ;   in Loop: Header=BB7_833 Depth=1
	s_cmp_gt_u32 s18, 7
	s_cbranch_scc1 .LBB7_860
; %bb.857:                              ;   in Loop: Header=BB7_833 Depth=1
	s_cmp_eq_u32 s18, 0
	s_cbranch_scc1 .LBB7_861
; %bb.858:                              ;   in Loop: Header=BB7_833 Depth=1
	s_mov_b64 s[14:15], 0
	v_pk_mov_b32 v[14:15], 0, 0
	s_mov_b64 s[16:17], 0
.LBB7_859:                              ;   Parent Loop BB7_833 Depth=1
                                        ; =>  This Inner Loop Header: Depth=2
	s_add_u32 s20, s4, s16
	s_addc_u32 s21, s5, s17
	global_load_ubyte v2, v27, s[20:21]
	s_add_u32 s16, s16, 1
	s_addc_u32 s17, s17, 0
	s_waitcnt vmcnt(0)
	v_and_b32_e32 v26, 0xffff, v2
	v_lshlrev_b64 v[2:3], s14, v[26:27]
	s_add_u32 s14, s14, 8
	s_addc_u32 s15, s15, 0
	v_or_b32_e32 v14, v2, v14
	s_cmp_lg_u32 s18, s16
	v_or_b32_e32 v15, v3, v15
	s_cbranch_scc1 .LBB7_859
	s_branch .LBB7_862
.LBB7_860:                              ;   in Loop: Header=BB7_833 Depth=1
                                        ; implicit-def: $vgpr14_vgpr15
                                        ; implicit-def: $sgpr19
	s_branch .LBB7_863
.LBB7_861:                              ;   in Loop: Header=BB7_833 Depth=1
	v_pk_mov_b32 v[14:15], 0, 0
.LBB7_862:                              ;   in Loop: Header=BB7_833 Depth=1
	s_mov_b32 s19, 0
	s_cbranch_execnz .LBB7_864
.LBB7_863:                              ;   in Loop: Header=BB7_833 Depth=1
	global_load_dwordx2 v[14:15], v27, s[4:5]
	s_add_i32 s19, s18, -8
	s_add_u32 s4, s4, 8
	s_addc_u32 s5, s5, 0
.LBB7_864:                              ;   in Loop: Header=BB7_833 Depth=1
	s_cmp_gt_u32 s19, 7
	s_cbranch_scc1 .LBB7_868
; %bb.865:                              ;   in Loop: Header=BB7_833 Depth=1
	s_cmp_eq_u32 s19, 0
	s_cbranch_scc1 .LBB7_869
; %bb.866:                              ;   in Loop: Header=BB7_833 Depth=1
	s_mov_b64 s[14:15], 0
	v_pk_mov_b32 v[16:17], 0, 0
	s_mov_b64 s[16:17], 0
.LBB7_867:                              ;   Parent Loop BB7_833 Depth=1
                                        ; =>  This Inner Loop Header: Depth=2
	s_add_u32 s20, s4, s16
	s_addc_u32 s21, s5, s17
	global_load_ubyte v2, v27, s[20:21]
	s_add_u32 s16, s16, 1
	s_addc_u32 s17, s17, 0
	s_waitcnt vmcnt(0)
	v_and_b32_e32 v26, 0xffff, v2
	v_lshlrev_b64 v[2:3], s14, v[26:27]
	s_add_u32 s14, s14, 8
	s_addc_u32 s15, s15, 0
	v_or_b32_e32 v16, v2, v16
	s_cmp_lg_u32 s19, s16
	v_or_b32_e32 v17, v3, v17
	s_cbranch_scc1 .LBB7_867
	s_branch .LBB7_870
.LBB7_868:                              ;   in Loop: Header=BB7_833 Depth=1
                                        ; implicit-def: $sgpr18
	s_branch .LBB7_871
.LBB7_869:                              ;   in Loop: Header=BB7_833 Depth=1
	v_pk_mov_b32 v[16:17], 0, 0
.LBB7_870:                              ;   in Loop: Header=BB7_833 Depth=1
	s_mov_b32 s18, 0
	s_cbranch_execnz .LBB7_872
.LBB7_871:                              ;   in Loop: Header=BB7_833 Depth=1
	global_load_dwordx2 v[16:17], v27, s[4:5]
	s_add_i32 s18, s19, -8
	s_add_u32 s4, s4, 8
	s_addc_u32 s5, s5, 0
.LBB7_872:                              ;   in Loop: Header=BB7_833 Depth=1
	s_cmp_gt_u32 s18, 7
	s_cbranch_scc1 .LBB7_876
; %bb.873:                              ;   in Loop: Header=BB7_833 Depth=1
	s_cmp_eq_u32 s18, 0
	s_cbranch_scc1 .LBB7_877
; %bb.874:                              ;   in Loop: Header=BB7_833 Depth=1
	s_mov_b64 s[14:15], 0
	v_pk_mov_b32 v[18:19], 0, 0
	s_mov_b64 s[16:17], 0
.LBB7_875:                              ;   Parent Loop BB7_833 Depth=1
                                        ; =>  This Inner Loop Header: Depth=2
	s_add_u32 s20, s4, s16
	s_addc_u32 s21, s5, s17
	global_load_ubyte v2, v27, s[20:21]
	s_add_u32 s16, s16, 1
	s_addc_u32 s17, s17, 0
	s_waitcnt vmcnt(0)
	v_and_b32_e32 v26, 0xffff, v2
	v_lshlrev_b64 v[2:3], s14, v[26:27]
	s_add_u32 s14, s14, 8
	s_addc_u32 s15, s15, 0
	v_or_b32_e32 v18, v2, v18
	s_cmp_lg_u32 s18, s16
	v_or_b32_e32 v19, v3, v19
	s_cbranch_scc1 .LBB7_875
	s_branch .LBB7_878
.LBB7_876:                              ;   in Loop: Header=BB7_833 Depth=1
                                        ; implicit-def: $vgpr18_vgpr19
                                        ; implicit-def: $sgpr19
	s_branch .LBB7_879
.LBB7_877:                              ;   in Loop: Header=BB7_833 Depth=1
	v_pk_mov_b32 v[18:19], 0, 0
.LBB7_878:                              ;   in Loop: Header=BB7_833 Depth=1
	s_mov_b32 s19, 0
	s_cbranch_execnz .LBB7_880
.LBB7_879:                              ;   in Loop: Header=BB7_833 Depth=1
	global_load_dwordx2 v[18:19], v27, s[4:5]
	s_add_i32 s19, s18, -8
	s_add_u32 s4, s4, 8
	s_addc_u32 s5, s5, 0
.LBB7_880:                              ;   in Loop: Header=BB7_833 Depth=1
	s_cmp_gt_u32 s19, 7
	s_cbranch_scc1 .LBB7_884
; %bb.881:                              ;   in Loop: Header=BB7_833 Depth=1
	s_cmp_eq_u32 s19, 0
	s_cbranch_scc1 .LBB7_885
; %bb.882:                              ;   in Loop: Header=BB7_833 Depth=1
	s_mov_b64 s[14:15], 0
	v_pk_mov_b32 v[20:21], 0, 0
	s_mov_b64 s[16:17], s[4:5]
.LBB7_883:                              ;   Parent Loop BB7_833 Depth=1
                                        ; =>  This Inner Loop Header: Depth=2
	global_load_ubyte v2, v27, s[16:17]
	s_add_i32 s19, s19, -1
	s_waitcnt vmcnt(0)
	v_and_b32_e32 v26, 0xffff, v2
	v_lshlrev_b64 v[2:3], s14, v[26:27]
	s_add_u32 s14, s14, 8
	s_addc_u32 s15, s15, 0
	s_add_u32 s16, s16, 1
	s_addc_u32 s17, s17, 0
	v_or_b32_e32 v20, v2, v20
	s_cmp_lg_u32 s19, 0
	v_or_b32_e32 v21, v3, v21
	s_cbranch_scc1 .LBB7_883
	s_branch .LBB7_886
.LBB7_884:                              ;   in Loop: Header=BB7_833 Depth=1
	s_branch .LBB7_887
.LBB7_885:                              ;   in Loop: Header=BB7_833 Depth=1
	v_pk_mov_b32 v[20:21], 0, 0
.LBB7_886:                              ;   in Loop: Header=BB7_833 Depth=1
	s_cbranch_execnz .LBB7_888
.LBB7_887:                              ;   in Loop: Header=BB7_833 Depth=1
	global_load_dwordx2 v[20:21], v27, s[4:5]
.LBB7_888:                              ;   in Loop: Header=BB7_833 Depth=1
	v_readfirstlane_b32 s4, v31
	v_cmp_eq_u32_e64 s[4:5], s4, v31
	v_pk_mov_b32 v[2:3], 0, 0
	s_and_saveexec_b64 s[14:15], s[4:5]
	s_cbranch_execz .LBB7_894
; %bb.889:                              ;   in Loop: Header=BB7_833 Depth=1
	global_load_dwordx2 v[24:25], v27, s[6:7] offset:24 glc
	s_waitcnt vmcnt(0)
	buffer_invl2
	buffer_wbinvl1_vol
	global_load_dwordx2 v[2:3], v27, s[6:7] offset:40
	global_load_dwordx2 v[22:23], v27, s[6:7]
	s_waitcnt vmcnt(1)
	v_and_b32_e32 v2, v2, v24
	v_and_b32_e32 v3, v3, v25
	v_mul_lo_u32 v3, v3, 24
	v_mul_hi_u32 v26, v2, 24
	v_mul_lo_u32 v2, v2, 24
	v_add_u32_e32 v3, v26, v3
	s_waitcnt vmcnt(0)
	v_add_co_u32_e32 v2, vcc, v22, v2
	v_addc_co_u32_e32 v3, vcc, v23, v3, vcc
	global_load_dwordx2 v[22:23], v[2:3], off glc
	s_waitcnt vmcnt(0)
	global_atomic_cmpswap_x2 v[2:3], v27, v[22:25], s[6:7] offset:24 glc
	s_waitcnt vmcnt(0)
	buffer_invl2
	buffer_wbinvl1_vol
	v_cmp_ne_u64_e32 vcc, v[2:3], v[24:25]
	s_and_saveexec_b64 s[16:17], vcc
	s_cbranch_execz .LBB7_893
; %bb.890:                              ;   in Loop: Header=BB7_833 Depth=1
	s_mov_b64 s[18:19], 0
.LBB7_891:                              ;   Parent Loop BB7_833 Depth=1
                                        ; =>  This Inner Loop Header: Depth=2
	s_sleep 1
	global_load_dwordx2 v[22:23], v27, s[6:7] offset:40
	global_load_dwordx2 v[28:29], v27, s[6:7]
	v_pk_mov_b32 v[24:25], v[2:3], v[2:3] op_sel:[0,1]
	s_waitcnt vmcnt(1)
	v_and_b32_e32 v2, v22, v24
	s_waitcnt vmcnt(0)
	v_mad_u64_u32 v[2:3], s[20:21], v2, 24, v[28:29]
	v_and_b32_e32 v23, v23, v25
	v_mov_b32_e32 v22, v3
	v_mad_u64_u32 v[22:23], s[20:21], v23, 24, v[22:23]
	v_mov_b32_e32 v3, v22
	global_load_dwordx2 v[22:23], v[2:3], off glc
	s_waitcnt vmcnt(0)
	global_atomic_cmpswap_x2 v[2:3], v27, v[22:25], s[6:7] offset:24 glc
	s_waitcnt vmcnt(0)
	buffer_invl2
	buffer_wbinvl1_vol
	v_cmp_eq_u64_e32 vcc, v[2:3], v[24:25]
	s_or_b64 s[18:19], vcc, s[18:19]
	s_andn2_b64 exec, exec, s[18:19]
	s_cbranch_execnz .LBB7_891
; %bb.892:                              ;   in Loop: Header=BB7_833 Depth=1
	s_or_b64 exec, exec, s[18:19]
.LBB7_893:                              ;   in Loop: Header=BB7_833 Depth=1
	s_or_b64 exec, exec, s[16:17]
.LBB7_894:                              ;   in Loop: Header=BB7_833 Depth=1
	s_or_b64 exec, exec, s[14:15]
	global_load_dwordx2 v[28:29], v27, s[6:7] offset:40
	global_load_dwordx4 v[22:25], v27, s[6:7]
	v_readfirstlane_b32 s14, v2
	v_readfirstlane_b32 s15, v3
	s_mov_b64 s[16:17], exec
	s_waitcnt vmcnt(1)
	v_readfirstlane_b32 s18, v28
	v_readfirstlane_b32 s19, v29
	s_and_b64 s[18:19], s[14:15], s[18:19]
	s_mul_i32 s20, s19, 24
	s_mul_hi_u32 s21, s18, 24
	s_mul_i32 s22, s18, 24
	s_add_i32 s20, s21, s20
	v_mov_b32_e32 v2, s20
	s_waitcnt vmcnt(0)
	v_add_co_u32_e32 v28, vcc, s22, v22
	v_addc_co_u32_e32 v29, vcc, v23, v2, vcc
	s_and_saveexec_b64 s[20:21], s[4:5]
	s_cbranch_execz .LBB7_896
; %bb.895:                              ;   in Loop: Header=BB7_833 Depth=1
	v_pk_mov_b32 v[2:3], s[16:17], s[16:17] op_sel:[0,1]
	global_store_dwordx4 v[28:29], v[2:5], off offset:8
.LBB7_896:                              ;   in Loop: Header=BB7_833 Depth=1
	s_or_b64 exec, exec, s[20:21]
	s_lshl_b64 s[16:17], s[18:19], 12
	v_mov_b32_e32 v3, s17
	v_add_co_u32_e32 v2, vcc, s16, v24
	v_addc_co_u32_e32 v3, vcc, v25, v3, vcc
	v_or_b32_e32 v24, 2, v6
	v_cmp_gt_u64_e64 vcc, s[10:11], 56
	s_lshl_b32 s16, s12, 2
	v_cndmask_b32_e32 v6, v24, v6, vcc
	s_add_i32 s16, s16, 28
	s_and_b32 s16, s16, 0x1e0
	v_and_b32_e32 v6, 0xffffff1f, v6
	v_or_b32_e32 v6, s16, v6
	v_readfirstlane_b32 s16, v2
	v_readfirstlane_b32 s17, v3
	s_nop 4
	global_store_dwordx4 v30, v[6:9], s[16:17]
	global_store_dwordx4 v30, v[10:13], s[16:17] offset:16
	global_store_dwordx4 v30, v[14:17], s[16:17] offset:32
	global_store_dwordx4 v30, v[18:21], s[16:17] offset:48
	s_and_saveexec_b64 s[16:17], s[4:5]
	s_cbranch_execz .LBB7_904
; %bb.897:                              ;   in Loop: Header=BB7_833 Depth=1
	global_load_dwordx2 v[14:15], v27, s[6:7] offset:32 glc
	global_load_dwordx2 v[6:7], v27, s[6:7] offset:40
	v_mov_b32_e32 v12, s14
	v_mov_b32_e32 v13, s15
	s_waitcnt vmcnt(0)
	v_readfirstlane_b32 s18, v6
	v_readfirstlane_b32 s19, v7
	s_and_b64 s[18:19], s[18:19], s[14:15]
	s_mul_i32 s19, s19, 24
	s_mul_hi_u32 s20, s18, 24
	s_mul_i32 s18, s18, 24
	s_add_i32 s19, s20, s19
	v_mov_b32_e32 v6, s19
	v_add_co_u32_e32 v10, vcc, s18, v22
	v_addc_co_u32_e32 v11, vcc, v23, v6, vcc
	global_store_dwordx2 v[10:11], v[14:15], off
	buffer_wbl2
	s_waitcnt vmcnt(0)
	global_atomic_cmpswap_x2 v[8:9], v27, v[12:15], s[6:7] offset:32 glc
	s_waitcnt vmcnt(0)
	v_cmp_ne_u64_e32 vcc, v[8:9], v[14:15]
	s_and_saveexec_b64 s[18:19], vcc
	s_cbranch_execz .LBB7_900
; %bb.898:                              ;   in Loop: Header=BB7_833 Depth=1
	s_mov_b64 s[20:21], 0
.LBB7_899:                              ;   Parent Loop BB7_833 Depth=1
                                        ; =>  This Inner Loop Header: Depth=2
	s_sleep 1
	global_store_dwordx2 v[10:11], v[8:9], off
	v_mov_b32_e32 v6, s14
	v_mov_b32_e32 v7, s15
	buffer_wbl2
	s_waitcnt vmcnt(0)
	global_atomic_cmpswap_x2 v[6:7], v27, v[6:9], s[6:7] offset:32 glc
	s_waitcnt vmcnt(0)
	v_cmp_eq_u64_e32 vcc, v[6:7], v[8:9]
	s_or_b64 s[20:21], vcc, s[20:21]
	v_pk_mov_b32 v[8:9], v[6:7], v[6:7] op_sel:[0,1]
	s_andn2_b64 exec, exec, s[20:21]
	s_cbranch_execnz .LBB7_899
.LBB7_900:                              ;   in Loop: Header=BB7_833 Depth=1
	s_or_b64 exec, exec, s[18:19]
	global_load_dwordx2 v[6:7], v27, s[6:7] offset:16
	s_mov_b64 s[20:21], exec
	v_mbcnt_lo_u32_b32 v8, s20, 0
	v_mbcnt_hi_u32_b32 v8, s21, v8
	v_cmp_eq_u32_e32 vcc, 0, v8
	s_and_saveexec_b64 s[18:19], vcc
	s_cbranch_execz .LBB7_902
; %bb.901:                              ;   in Loop: Header=BB7_833 Depth=1
	s_bcnt1_i32_b64 s20, s[20:21]
	v_mov_b32_e32 v26, s20
	buffer_wbl2
	s_waitcnt vmcnt(0)
	global_atomic_add_x2 v[6:7], v[26:27], off offset:8
.LBB7_902:                              ;   in Loop: Header=BB7_833 Depth=1
	s_or_b64 exec, exec, s[18:19]
	s_waitcnt vmcnt(0)
	global_load_dwordx2 v[8:9], v[6:7], off offset:16
	s_waitcnt vmcnt(0)
	v_cmp_eq_u64_e32 vcc, 0, v[8:9]
	s_cbranch_vccnz .LBB7_904
; %bb.903:                              ;   in Loop: Header=BB7_833 Depth=1
	global_load_dword v26, v[6:7], off offset:24
	s_waitcnt vmcnt(0)
	v_and_b32_e32 v6, 0xffffff, v26
	v_readfirstlane_b32 m0, v6
	buffer_wbl2
	global_store_dwordx2 v[8:9], v[26:27], off
	s_sendmsg sendmsg(MSG_INTERRUPT)
.LBB7_904:                              ;   in Loop: Header=BB7_833 Depth=1
	s_or_b64 exec, exec, s[16:17]
	v_add_co_u32_e32 v2, vcc, v2, v30
	v_addc_co_u32_e32 v3, vcc, 0, v3, vcc
	s_branch .LBB7_908
.LBB7_905:                              ;   in Loop: Header=BB7_908 Depth=2
	s_or_b64 exec, exec, s[16:17]
	v_readfirstlane_b32 s16, v6
	s_cmp_eq_u32 s16, 0
	s_cbranch_scc1 .LBB7_907
; %bb.906:                              ;   in Loop: Header=BB7_908 Depth=2
	s_sleep 1
	s_cbranch_execnz .LBB7_908
	s_branch .LBB7_910
.LBB7_907:                              ;   in Loop: Header=BB7_833 Depth=1
	s_branch .LBB7_910
.LBB7_908:                              ;   Parent Loop BB7_833 Depth=1
                                        ; =>  This Inner Loop Header: Depth=2
	v_mov_b32_e32 v6, 1
	s_and_saveexec_b64 s[16:17], s[4:5]
	s_cbranch_execz .LBB7_905
; %bb.909:                              ;   in Loop: Header=BB7_908 Depth=2
	global_load_dword v6, v[28:29], off offset:20 glc
	s_waitcnt vmcnt(0)
	buffer_invl2
	buffer_wbinvl1_vol
	v_and_b32_e32 v6, 1, v6
	s_branch .LBB7_905
.LBB7_910:                              ;   in Loop: Header=BB7_833 Depth=1
	global_load_dwordx4 v[6:9], v[2:3], off
	s_and_saveexec_b64 s[16:17], s[4:5]
	s_cbranch_execz .LBB7_832
; %bb.911:                              ;   in Loop: Header=BB7_833 Depth=1
	global_load_dwordx2 v[2:3], v27, s[6:7] offset:40
	global_load_dwordx2 v[12:13], v27, s[6:7] offset:24 glc
	global_load_dwordx2 v[14:15], v27, s[6:7]
	s_waitcnt vmcnt(3)
	v_mov_b32_e32 v9, s15
	s_waitcnt vmcnt(2)
	v_add_co_u32_e32 v11, vcc, 1, v2
	v_addc_co_u32_e32 v16, vcc, 0, v3, vcc
	v_add_co_u32_e32 v8, vcc, s14, v11
	v_addc_co_u32_e32 v9, vcc, v16, v9, vcc
	v_cmp_eq_u64_e32 vcc, 0, v[8:9]
	v_cndmask_b32_e32 v9, v9, v16, vcc
	v_cndmask_b32_e32 v8, v8, v11, vcc
	v_and_b32_e32 v3, v9, v3
	v_and_b32_e32 v2, v8, v2
	v_mul_lo_u32 v3, v3, 24
	v_mul_hi_u32 v11, v2, 24
	v_mul_lo_u32 v2, v2, 24
	v_add_u32_e32 v3, v11, v3
	s_waitcnt vmcnt(0)
	v_add_co_u32_e32 v2, vcc, v14, v2
	v_addc_co_u32_e32 v3, vcc, v15, v3, vcc
	v_mov_b32_e32 v10, v12
	global_store_dwordx2 v[2:3], v[12:13], off
	v_mov_b32_e32 v11, v13
	buffer_wbl2
	s_waitcnt vmcnt(0)
	global_atomic_cmpswap_x2 v[10:11], v27, v[8:11], s[6:7] offset:24 glc
	s_waitcnt vmcnt(0)
	v_cmp_ne_u64_e32 vcc, v[10:11], v[12:13]
	s_and_b64 exec, exec, vcc
	s_cbranch_execz .LBB7_832
; %bb.912:                              ;   in Loop: Header=BB7_833 Depth=1
	s_mov_b64 s[4:5], 0
.LBB7_913:                              ;   Parent Loop BB7_833 Depth=1
                                        ; =>  This Inner Loop Header: Depth=2
	s_sleep 1
	global_store_dwordx2 v[2:3], v[10:11], off
	buffer_wbl2
	s_waitcnt vmcnt(0)
	global_atomic_cmpswap_x2 v[12:13], v27, v[8:11], s[6:7] offset:24 glc
	s_waitcnt vmcnt(0)
	v_cmp_eq_u64_e32 vcc, v[12:13], v[10:11]
	s_or_b64 s[4:5], vcc, s[4:5]
	v_pk_mov_b32 v[10:11], v[12:13], v[12:13] op_sel:[0,1]
	s_andn2_b64 exec, exec, s[4:5]
	s_cbranch_execnz .LBB7_913
	s_branch .LBB7_832
.LBB7_914:
	s_branch .LBB7_942
.LBB7_915:
	s_cbranch_execz .LBB7_942
; %bb.916:
	v_readfirstlane_b32 s4, v31
	v_cmp_eq_u32_e64 s[4:5], s4, v31
	s_waitcnt vmcnt(0)
	v_pk_mov_b32 v[8:9], 0, 0
	s_and_saveexec_b64 s[8:9], s[4:5]
	s_cbranch_execz .LBB7_922
; %bb.917:
	v_mov_b32_e32 v2, 0
	global_load_dwordx2 v[6:7], v2, s[6:7] offset:24 glc
	s_waitcnt vmcnt(0)
	buffer_invl2
	buffer_wbinvl1_vol
	global_load_dwordx2 v[4:5], v2, s[6:7] offset:40
	global_load_dwordx2 v[8:9], v2, s[6:7]
	s_waitcnt vmcnt(1)
	v_and_b32_e32 v3, v4, v6
	v_and_b32_e32 v4, v5, v7
	v_mul_lo_u32 v4, v4, 24
	v_mul_hi_u32 v5, v3, 24
	v_mul_lo_u32 v3, v3, 24
	v_add_u32_e32 v5, v5, v4
	s_waitcnt vmcnt(0)
	v_add_co_u32_e32 v4, vcc, v8, v3
	v_addc_co_u32_e32 v5, vcc, v9, v5, vcc
	global_load_dwordx2 v[4:5], v[4:5], off glc
	s_waitcnt vmcnt(0)
	global_atomic_cmpswap_x2 v[8:9], v2, v[4:7], s[6:7] offset:24 glc
	s_waitcnt vmcnt(0)
	buffer_invl2
	buffer_wbinvl1_vol
	v_cmp_ne_u64_e32 vcc, v[8:9], v[6:7]
	s_and_saveexec_b64 s[10:11], vcc
	s_cbranch_execz .LBB7_921
; %bb.918:
	s_mov_b64 s[12:13], 0
.LBB7_919:                              ; =>This Inner Loop Header: Depth=1
	s_sleep 1
	global_load_dwordx2 v[4:5], v2, s[6:7] offset:40
	global_load_dwordx2 v[10:11], v2, s[6:7]
	v_pk_mov_b32 v[6:7], v[8:9], v[8:9] op_sel:[0,1]
	s_waitcnt vmcnt(1)
	v_and_b32_e32 v4, v4, v6
	v_and_b32_e32 v3, v5, v7
	s_waitcnt vmcnt(0)
	v_mad_u64_u32 v[4:5], s[14:15], v4, 24, v[10:11]
	v_mov_b32_e32 v8, v5
	v_mad_u64_u32 v[8:9], s[14:15], v3, 24, v[8:9]
	v_mov_b32_e32 v5, v8
	global_load_dwordx2 v[4:5], v[4:5], off glc
	s_waitcnt vmcnt(0)
	global_atomic_cmpswap_x2 v[8:9], v2, v[4:7], s[6:7] offset:24 glc
	s_waitcnt vmcnt(0)
	buffer_invl2
	buffer_wbinvl1_vol
	v_cmp_eq_u64_e32 vcc, v[8:9], v[6:7]
	s_or_b64 s[12:13], vcc, s[12:13]
	s_andn2_b64 exec, exec, s[12:13]
	s_cbranch_execnz .LBB7_919
; %bb.920:
	s_or_b64 exec, exec, s[12:13]
.LBB7_921:
	s_or_b64 exec, exec, s[10:11]
.LBB7_922:
	s_or_b64 exec, exec, s[8:9]
	v_mov_b32_e32 v2, 0
	global_load_dwordx2 v[10:11], v2, s[6:7] offset:40
	global_load_dwordx4 v[4:7], v2, s[6:7]
	v_readfirstlane_b32 s8, v8
	v_readfirstlane_b32 s9, v9
	s_mov_b64 s[10:11], exec
	s_waitcnt vmcnt(1)
	v_readfirstlane_b32 s12, v10
	v_readfirstlane_b32 s13, v11
	s_and_b64 s[12:13], s[8:9], s[12:13]
	s_mul_i32 s14, s13, 24
	s_mul_hi_u32 s15, s12, 24
	s_mul_i32 s16, s12, 24
	s_add_i32 s14, s15, s14
	v_mov_b32_e32 v3, s14
	s_waitcnt vmcnt(0)
	v_add_co_u32_e32 v8, vcc, s16, v4
	v_addc_co_u32_e32 v9, vcc, v5, v3, vcc
	s_and_saveexec_b64 s[14:15], s[4:5]
	s_cbranch_execz .LBB7_924
; %bb.923:
	v_pk_mov_b32 v[10:11], s[10:11], s[10:11] op_sel:[0,1]
	v_mov_b32_e32 v12, 2
	v_mov_b32_e32 v13, 1
	global_store_dwordx4 v[8:9], v[10:13], off offset:8
.LBB7_924:
	s_or_b64 exec, exec, s[14:15]
	s_lshl_b64 s[10:11], s[12:13], 12
	v_mov_b32_e32 v3, s11
	v_add_co_u32_e32 v6, vcc, s10, v6
	v_addc_co_u32_e32 v7, vcc, v7, v3, vcc
	s_movk_i32 s10, 0xff1d
	s_mov_b32 s12, 0
	v_and_or_b32 v0, v0, s10, 34
	v_mov_b32_e32 v3, v2
	v_readfirstlane_b32 s10, v6
	v_readfirstlane_b32 s11, v7
	s_mov_b32 s13, s12
	s_mov_b32 s14, s12
	;; [unrolled: 1-line block ×3, first 2 shown]
	s_nop 1
	global_store_dwordx4 v30, v[0:3], s[10:11]
	s_nop 0
	v_pk_mov_b32 v[0:1], s[12:13], s[12:13] op_sel:[0,1]
	v_pk_mov_b32 v[2:3], s[14:15], s[14:15] op_sel:[0,1]
	global_store_dwordx4 v30, v[0:3], s[10:11] offset:16
	global_store_dwordx4 v30, v[0:3], s[10:11] offset:32
	;; [unrolled: 1-line block ×3, first 2 shown]
	s_and_saveexec_b64 s[10:11], s[4:5]
	s_cbranch_execz .LBB7_932
; %bb.925:
	v_mov_b32_e32 v6, 0
	global_load_dwordx2 v[12:13], v6, s[6:7] offset:32 glc
	global_load_dwordx2 v[0:1], v6, s[6:7] offset:40
	v_mov_b32_e32 v10, s8
	v_mov_b32_e32 v11, s9
	s_waitcnt vmcnt(0)
	v_readfirstlane_b32 s12, v0
	v_readfirstlane_b32 s13, v1
	s_and_b64 s[12:13], s[12:13], s[8:9]
	s_mul_i32 s13, s13, 24
	s_mul_hi_u32 s14, s12, 24
	s_mul_i32 s12, s12, 24
	s_add_i32 s13, s14, s13
	v_mov_b32_e32 v0, s13
	v_add_co_u32_e32 v4, vcc, s12, v4
	v_addc_co_u32_e32 v5, vcc, v5, v0, vcc
	global_store_dwordx2 v[4:5], v[12:13], off
	buffer_wbl2
	s_waitcnt vmcnt(0)
	global_atomic_cmpswap_x2 v[2:3], v6, v[10:13], s[6:7] offset:32 glc
	s_waitcnt vmcnt(0)
	v_cmp_ne_u64_e32 vcc, v[2:3], v[12:13]
	s_and_saveexec_b64 s[12:13], vcc
	s_cbranch_execz .LBB7_928
; %bb.926:
	s_mov_b64 s[14:15], 0
.LBB7_927:                              ; =>This Inner Loop Header: Depth=1
	s_sleep 1
	global_store_dwordx2 v[4:5], v[2:3], off
	v_mov_b32_e32 v0, s8
	v_mov_b32_e32 v1, s9
	buffer_wbl2
	s_waitcnt vmcnt(0)
	global_atomic_cmpswap_x2 v[0:1], v6, v[0:3], s[6:7] offset:32 glc
	s_waitcnt vmcnt(0)
	v_cmp_eq_u64_e32 vcc, v[0:1], v[2:3]
	s_or_b64 s[14:15], vcc, s[14:15]
	v_pk_mov_b32 v[2:3], v[0:1], v[0:1] op_sel:[0,1]
	s_andn2_b64 exec, exec, s[14:15]
	s_cbranch_execnz .LBB7_927
.LBB7_928:
	s_or_b64 exec, exec, s[12:13]
	v_mov_b32_e32 v3, 0
	global_load_dwordx2 v[0:1], v3, s[6:7] offset:16
	s_mov_b64 s[12:13], exec
	v_mbcnt_lo_u32_b32 v2, s12, 0
	v_mbcnt_hi_u32_b32 v2, s13, v2
	v_cmp_eq_u32_e32 vcc, 0, v2
	s_and_saveexec_b64 s[14:15], vcc
	s_cbranch_execz .LBB7_930
; %bb.929:
	s_bcnt1_i32_b64 s12, s[12:13]
	v_mov_b32_e32 v2, s12
	buffer_wbl2
	s_waitcnt vmcnt(0)
	global_atomic_add_x2 v[0:1], v[2:3], off offset:8
.LBB7_930:
	s_or_b64 exec, exec, s[14:15]
	s_waitcnt vmcnt(0)
	global_load_dwordx2 v[2:3], v[0:1], off offset:16
	s_waitcnt vmcnt(0)
	v_cmp_eq_u64_e32 vcc, 0, v[2:3]
	s_cbranch_vccnz .LBB7_932
; %bb.931:
	global_load_dword v0, v[0:1], off offset:24
	v_mov_b32_e32 v1, 0
	buffer_wbl2
	s_waitcnt vmcnt(0)
	global_store_dwordx2 v[2:3], v[0:1], off
	v_and_b32_e32 v0, 0xffffff, v0
	v_readfirstlane_b32 m0, v0
	s_sendmsg sendmsg(MSG_INTERRUPT)
.LBB7_932:
	s_or_b64 exec, exec, s[10:11]
	s_branch .LBB7_936
.LBB7_933:                              ;   in Loop: Header=BB7_936 Depth=1
	s_or_b64 exec, exec, s[10:11]
	v_readfirstlane_b32 s10, v0
	s_cmp_eq_u32 s10, 0
	s_cbranch_scc1 .LBB7_935
; %bb.934:                              ;   in Loop: Header=BB7_936 Depth=1
	s_sleep 1
	s_cbranch_execnz .LBB7_936
	s_branch .LBB7_938
.LBB7_935:
	s_branch .LBB7_938
.LBB7_936:                              ; =>This Inner Loop Header: Depth=1
	v_mov_b32_e32 v0, 1
	s_and_saveexec_b64 s[10:11], s[4:5]
	s_cbranch_execz .LBB7_933
; %bb.937:                              ;   in Loop: Header=BB7_936 Depth=1
	global_load_dword v0, v[8:9], off offset:20 glc
	s_waitcnt vmcnt(0)
	buffer_invl2
	buffer_wbinvl1_vol
	v_and_b32_e32 v0, 1, v0
	s_branch .LBB7_933
.LBB7_938:
	s_and_saveexec_b64 s[10:11], s[4:5]
	s_cbranch_execz .LBB7_941
; %bb.939:
	v_mov_b32_e32 v6, 0
	global_load_dwordx2 v[4:5], v6, s[6:7] offset:40
	global_load_dwordx2 v[8:9], v6, s[6:7] offset:24 glc
	global_load_dwordx2 v[10:11], v6, s[6:7]
	v_mov_b32_e32 v1, s9
	s_mov_b64 s[4:5], 0
	s_waitcnt vmcnt(2)
	v_add_co_u32_e32 v3, vcc, 1, v4
	v_addc_co_u32_e32 v7, vcc, 0, v5, vcc
	v_add_co_u32_e32 v0, vcc, s8, v3
	v_addc_co_u32_e32 v1, vcc, v7, v1, vcc
	v_cmp_eq_u64_e32 vcc, 0, v[0:1]
	v_cndmask_b32_e32 v1, v1, v7, vcc
	v_cndmask_b32_e32 v0, v0, v3, vcc
	v_and_b32_e32 v3, v1, v5
	v_and_b32_e32 v4, v0, v4
	v_mul_lo_u32 v3, v3, 24
	v_mul_hi_u32 v5, v4, 24
	v_mul_lo_u32 v4, v4, 24
	v_add_u32_e32 v3, v5, v3
	s_waitcnt vmcnt(0)
	v_add_co_u32_e32 v4, vcc, v10, v4
	v_addc_co_u32_e32 v5, vcc, v11, v3, vcc
	v_mov_b32_e32 v2, v8
	global_store_dwordx2 v[4:5], v[8:9], off
	v_mov_b32_e32 v3, v9
	buffer_wbl2
	s_waitcnt vmcnt(0)
	global_atomic_cmpswap_x2 v[2:3], v6, v[0:3], s[6:7] offset:24 glc
	s_waitcnt vmcnt(0)
	v_cmp_ne_u64_e32 vcc, v[2:3], v[8:9]
	s_and_b64 exec, exec, vcc
	s_cbranch_execz .LBB7_941
.LBB7_940:                              ; =>This Inner Loop Header: Depth=1
	s_sleep 1
	global_store_dwordx2 v[4:5], v[2:3], off
	buffer_wbl2
	s_waitcnt vmcnt(0)
	global_atomic_cmpswap_x2 v[8:9], v6, v[0:3], s[6:7] offset:24 glc
	s_waitcnt vmcnt(0)
	v_cmp_eq_u64_e32 vcc, v[8:9], v[2:3]
	s_or_b64 s[4:5], vcc, s[4:5]
	v_pk_mov_b32 v[2:3], v[8:9], v[8:9] op_sel:[0,1]
	s_andn2_b64 exec, exec, s[4:5]
	s_cbranch_execnz .LBB7_940
.LBB7_941:
	s_or_b64 exec, exec, s[10:11]
.LBB7_942:
	v_readlane_b32 s4, v120, 0
	v_readlane_b32 s5, v120, 1
	s_add_u32 s8, s4, 0x80
	s_addc_u32 s9, s5, 0
	s_getpc_b64 s[4:5]
	s_add_u32 s4, s4, .str.29@rel32@lo+4
	s_addc_u32 s5, s5, .str.29@rel32@hi+12
	s_getpc_b64 s[6:7]
	s_add_u32 s6, s6, .str.19@rel32@lo+4
	s_addc_u32 s7, s7, .str.19@rel32@hi+12
	s_getpc_b64 s[10:11]
	s_add_u32 s10, s10, __PRETTY_FUNCTION__._ZN7VecsMemIjLi8192EE5fetchEi@rel32@lo+4
	s_addc_u32 s11, s11, __PRETTY_FUNCTION__._ZN7VecsMemIjLi8192EE5fetchEi@rel32@hi+12
	s_waitcnt vmcnt(0)
	v_mov_b32_e32 v0, s4
	v_mov_b32_e32 v1, s5
	;; [unrolled: 1-line block ×7, first 2 shown]
	s_getpc_b64 s[12:13]
	s_add_u32 s12, s12, __assert_fail@rel32@lo+4
	s_addc_u32 s13, s13, __assert_fail@rel32@hi+12
	s_swappc_b64 s[30:31], s[12:13]
	s_or_b64 s[26:27], s[26:27], exec
	s_or_b64 exec, exec, s[38:39]
	s_and_saveexec_b64 s[4:5], s[34:35]
	s_xor_b64 s[34:35], exec, s[4:5]
	s_cbranch_execz .LBB7_372
.LBB7_943:
	v_readlane_b32 s4, v120, 0
	v_readlane_b32 s5, v120, 1
	s_add_u32 s8, s4, 0x80
	s_addc_u32 s9, s5, 0
	s_getpc_b64 s[4:5]
	s_add_u32 s4, s4, .str.18@rel32@lo+4
	s_addc_u32 s5, s5, .str.18@rel32@hi+12
	s_getpc_b64 s[6:7]
	s_add_u32 s6, s6, .str.19@rel32@lo+4
	s_addc_u32 s7, s7, .str.19@rel32@hi+12
	s_getpc_b64 s[10:11]
	s_add_u32 s10, s10, __PRETTY_FUNCTION__._ZN7VecsMemIjLi8192EE6shrinkEi@rel32@lo+4
	s_addc_u32 s11, s11, __PRETTY_FUNCTION__._ZN7VecsMemIjLi8192EE6shrinkEi@rel32@hi+12
	v_mov_b32_e32 v0, s4
	v_mov_b32_e32 v1, s5
	;; [unrolled: 1-line block ×6, first 2 shown]
	s_waitcnt vmcnt(0)
	v_mov_b32_e32 v6, s11
	s_getpc_b64 s[12:13]
	s_add_u32 s12, s12, __assert_fail@rel32@lo+4
	s_addc_u32 s13, s13, __assert_fail@rel32@hi+12
	s_swappc_b64 s[30:31], s[12:13]
	s_or_b64 s[26:27], s[26:27], exec
	s_or_b64 exec, exec, s[34:35]
	s_and_saveexec_b64 s[34:35], s[28:29]
	s_cbranch_execz .LBB7_373
.LBB7_944:
	v_readlane_b32 s4, v120, 0
	v_readlane_b32 s5, v120, 1
	s_add_u32 s8, s4, 0x80
	s_addc_u32 s9, s5, 0
	s_getpc_b64 s[4:5]
	s_add_u32 s4, s4, .str.7@rel32@lo+4
	s_addc_u32 s5, s5, .str.7@rel32@hi+12
	s_getpc_b64 s[6:7]
	s_add_u32 s6, s6, .str.1@rel32@lo+4
	s_addc_u32 s7, s7, .str.1@rel32@hi+12
	s_getpc_b64 s[10:11]
	s_add_u32 s10, s10, __PRETTY_FUNCTION__._Z8resynCutPKiS0_S0_S0_PKyPKjiS0_PyPiS6_S6_PjS0_S4_ii@rel32@lo+4
	s_addc_u32 s11, s11, __PRETTY_FUNCTION__._Z8resynCutPKiS0_S0_S0_PKyPKjiS0_PyPiS6_S6_PjS0_S4_ii@rel32@hi+12
	v_mov_b32_e32 v0, s4
	v_mov_b32_e32 v1, s5
	;; [unrolled: 1-line block ×6, first 2 shown]
	s_waitcnt vmcnt(0)
	v_mov_b32_e32 v6, s11
	s_getpc_b64 s[12:13]
	s_add_u32 s12, s12, __assert_fail@rel32@lo+4
	s_addc_u32 s13, s13, __assert_fail@rel32@hi+12
	s_swappc_b64 s[30:31], s[12:13]
	s_or_b64 s[26:27], s[26:27], exec
	s_or_b64 exec, exec, s[34:35]
	s_and_saveexec_b64 s[4:5], s[26:27]
	s_cbranch_execz .LBB7_374
.LBB7_945:
	; divergent unreachable
	s_endpgm
	.section	.rodata,"a",@progbits
	.p2align	6, 0x0
	.amdhsa_kernel _Z8resynCutPKiS0_S0_S0_PKyPKjiS0_PyPiS6_S6_PjS0_S4_ii
		.amdhsa_group_segment_fixed_size 32768
		.amdhsa_private_segment_fixed_size 41392
		.amdhsa_kernarg_size 384
		.amdhsa_user_sgpr_count 10
		.amdhsa_user_sgpr_private_segment_buffer 1
		.amdhsa_user_sgpr_dispatch_ptr 1
		.amdhsa_user_sgpr_queue_ptr 0
		.amdhsa_user_sgpr_kernarg_segment_ptr 1
		.amdhsa_user_sgpr_dispatch_id 0
		.amdhsa_user_sgpr_flat_scratch_init 1
		.amdhsa_user_sgpr_kernarg_preload_length 0
		.amdhsa_user_sgpr_kernarg_preload_offset 0
		.amdhsa_user_sgpr_private_segment_size 0
		.amdhsa_uses_dynamic_stack 1
		.amdhsa_system_sgpr_private_segment_wavefront_offset 1
		.amdhsa_system_sgpr_workgroup_id_x 1
		.amdhsa_system_sgpr_workgroup_id_y 0
		.amdhsa_system_sgpr_workgroup_id_z 0
		.amdhsa_system_sgpr_workgroup_info 0
		.amdhsa_system_vgpr_workitem_id 2
		.amdhsa_next_free_vgpr 168
		.amdhsa_next_free_sgpr 100
		.amdhsa_accum_offset 128
		.amdhsa_reserve_vcc 1
		.amdhsa_reserve_flat_scratch 1
		.amdhsa_float_round_mode_32 0
		.amdhsa_float_round_mode_16_64 0
		.amdhsa_float_denorm_mode_32 3
		.amdhsa_float_denorm_mode_16_64 3
		.amdhsa_dx10_clamp 1
		.amdhsa_ieee_mode 1
		.amdhsa_fp16_overflow 0
		.amdhsa_tg_split 0
		.amdhsa_exception_fp_ieee_invalid_op 0
		.amdhsa_exception_fp_denorm_src 0
		.amdhsa_exception_fp_ieee_div_zero 0
		.amdhsa_exception_fp_ieee_overflow 0
		.amdhsa_exception_fp_ieee_underflow 0
		.amdhsa_exception_fp_ieee_inexact 0
		.amdhsa_exception_int_div_zero 0
	.end_amdhsa_kernel
	.text
.Lfunc_end7:
	.size	_Z8resynCutPKiS0_S0_S0_PKyPKjiS0_PyPiS6_S6_PjS0_S4_ii, .Lfunc_end7-_Z8resynCutPKiS0_S0_S0_PKyPKjiS0_PyPiS6_S6_PjS0_S4_ii
                                        ; -- End function
	.section	.AMDGPU.csdata,"",@progbits
; Kernel info:
; codeLenInByte = 74644
; NumSgprs: 106
; NumVgprs: 128
; NumAgprs: 40
; TotalNumVgprs: 168
; ScratchSize: 41392
; MemoryBound: 0
; FloatMode: 240
; IeeeMode: 1
; LDSByteSize: 32768 bytes/workgroup (compile time only)
; SGPRBlocks: 13
; VGPRBlocks: 20
; NumSGPRsForWavesPerEU: 106
; NumVGPRsForWavesPerEU: 168
; AccumOffset: 128
; Occupancy: 3
; WaveLimiterHint : 1
; COMPUTE_PGM_RSRC2:SCRATCH_EN: 1
; COMPUTE_PGM_RSRC2:USER_SGPR: 10
; COMPUTE_PGM_RSRC2:TRAP_HANDLER: 0
; COMPUTE_PGM_RSRC2:TGID_X_EN: 1
; COMPUTE_PGM_RSRC2:TGID_Y_EN: 0
; COMPUTE_PGM_RSRC2:TGID_Z_EN: 0
; COMPUTE_PGM_RSRC2:TIDIG_COMP_CNT: 2
; COMPUTE_PGM_RSRC3_GFX90A:ACCUM_OFFSET: 31
; COMPUTE_PGM_RSRC3_GFX90A:TG_SPLIT: 0
	.text
	.protected	_Z15factorFromTruthPKiS0_PyPiS2_S2_PKjS4_S0_S4_i ; -- Begin function _Z15factorFromTruthPKiS0_PyPiS2_S2_PKjS4_S0_S4_i
	.globl	_Z15factorFromTruthPKiS0_PyPiS2_S2_PKjS4_S0_S4_i
	.p2align	8
	.type	_Z15factorFromTruthPKiS0_PyPiS2_S2_PKjS4_S0_S4_i,@function
_Z15factorFromTruthPKiS0_PyPiS2_S2_PKjS4_S0_S4_i: ; @_Z15factorFromTruthPKiS0_PyPiS2_S2_PKjS4_S0_S4_i
; %bb.0:
	s_add_u32 flat_scratch_lo, s8, s11
	s_addc_u32 flat_scratch_hi, s9, 0
	s_mov_b64 s[44:45], s[6:7]
	s_load_dword s6, s[6:7], 0x64
	s_nop 0
	s_load_dword s12, s[44:45], 0x50
	s_add_u32 s0, s0, s11
	s_addc_u32 s1, s1, 0
	s_add_u32 s8, s44, 0x58
	s_addc_u32 s9, s45, 0
	s_waitcnt lgkmcnt(0)
	s_and_b32 s6, s6, 0xffff
	v_and_b32_e32 v1, 0x3ff, v0
                                        ; implicit-def: $vgpr47 : SGPR spill to VGPR lane
	s_mul_i32 s10, s10, s6
	v_writelane_b32 v47, s8, 0
	v_add_u32_e32 v2, s10, v1
	s_lshl_b32 s6, s12, 1
	v_writelane_b32 v47, s9, 1
	v_mov_b32_e32 v72, 0
	v_mov_b32_e32 v3, 0x8010
	v_cmp_gt_i32_e32 vcc, s6, v2
	s_mov_b64 s[8:9], -1
	s_mov_b64 s[6:7], 0
	s_mov_b64 s[36:37], 0
	;; [unrolled: 1-line block ×4, first 2 shown]
	s_mov_b32 s32, 0x220800
	buffer_store_dword v72, v3, s[0:3], 0 offen
	s_and_saveexec_b64 s[46:47], vcc
	s_cbranch_execz .LBB8_414
; %bb.1:
	s_load_dwordx16 s[48:63], s[44:45], 0x0
	v_mov_b32_e32 v3, s12
	v_cmp_le_i32_e64 s[36:37], s12, v2
	v_cndmask_b32_e64 v3, 0, v3, s[36:37]
	v_cmp_gt_i32_e64 s[6:7], s12, v2
	v_sub_u32_e32 v74, v2, v3
	v_writelane_b32 v47, s6, 2
	v_ashrrev_i32_e32 v75, 31, v74
	v_writelane_b32 v47, s7, 3
	v_cmp_ne_u32_e32 vcc, v2, v3
	v_lshlrev_b64 v[4:5], 2, v[74:75]
	v_writelane_b32 v47, s12, 4
	s_and_saveexec_b64 s[8:9], vcc
	s_cbranch_execz .LBB8_3
; %bb.2:
	s_waitcnt lgkmcnt(0)
	v_mov_b32_e32 v3, s51
	v_add_co_u32_e64 v2, s[6:7], s50, v4
	v_addc_co_u32_e64 v3, s[6:7], v3, v5, s[6:7]
	global_load_dword v72, v[2:3], off offset:-4
.LBB8_3:
	s_or_b64 exec, exec, s[8:9]
	s_waitcnt lgkmcnt(0)
	v_mov_b32_e32 v3, s51
	v_add_co_u32_e64 v2, s[6:7], s50, v4
	v_addc_co_u32_e64 v3, s[6:7], v3, v5, s[6:7]
	global_load_dword v46, v[2:3], off
	s_load_dwordx2 s[6:7], s[44:45], 0x40
	v_mov_b32_e32 v2, 0
	s_and_saveexec_b64 s[8:9], vcc
	s_cbranch_execz .LBB8_5
; %bb.4:
	s_waitcnt lgkmcnt(0)
	v_mov_b32_e32 v3, s7
	v_add_co_u32_e32 v2, vcc, s6, v4
	v_addc_co_u32_e32 v3, vcc, v3, v5, vcc
	global_load_dword v2, v[2:3], off offset:-4
.LBB8_5:
	s_or_b64 exec, exec, s[8:9]
	s_waitcnt lgkmcnt(0)
	v_mov_b32_e32 v3, s7
	v_add_co_u32_e32 v4, vcc, s6, v4
	v_addc_co_u32_e32 v5, vcc, v3, v5, vcc
	global_load_dword v3, v[4:5], off
	s_waitcnt vmcnt(1)
	v_sub_u32_e32 v41, v46, v72
	v_add_u32_e32 v4, -5, v41
	v_lshlrev_b32_e64 v4, v4, 1
	v_cmp_lt_i32_e32 vcc, 5, v41
	v_cndmask_b32_e32 v4, 1, v4, vcc
	s_mov_b64 s[6:7], 0
	s_mov_b64 s[34:35], 0
	v_writelane_b32 v47, s6, 5
	v_writelane_b32 v47, s7, 6
	s_waitcnt vmcnt(0)
	v_sub_u32_e32 v76, v3, v2
	v_cmp_ne_u32_e32 vcc, v76, v4
	s_and_saveexec_b64 s[6:7], vcc
	s_xor_b64 s[26:27], exec, s[6:7]
	s_cbranch_execz .LBB8_7
; %bb.6:
	s_add_u32 s8, s44, 0x58
	s_addc_u32 s9, s45, 0
	s_getpc_b64 s[6:7]
	s_add_u32 s6, s6, .str.12@rel32@lo+4
	s_addc_u32 s7, s7, .str.12@rel32@hi+12
	s_getpc_b64 s[10:11]
	s_add_u32 s10, s10, .str.1@rel32@lo+4
	s_addc_u32 s11, s11, .str.1@rel32@hi+12
	s_getpc_b64 s[12:13]
	s_add_u32 s12, s12, __PRETTY_FUNCTION__._Z15factorFromTruthPKiS0_PyPiS2_S2_PKjS4_S0_S4_i@rel32@lo+4
	s_addc_u32 s13, s13, __PRETTY_FUNCTION__._Z15factorFromTruthPKiS0_PyPiS2_S2_PKjS4_S0_S4_i@rel32@hi+12
	v_mov_b32_e32 v0, s6
	v_mov_b32_e32 v1, s7
	;; [unrolled: 1-line block ×7, first 2 shown]
	s_getpc_b64 s[14:15]
	s_add_u32 s14, s14, __assert_fail@rel32@lo+4
	s_addc_u32 s15, s15, __assert_fail@rel32@hi+12
	s_mov_b64 s[28:29], s[4:5]
	s_swappc_b64 s[30:31], s[14:15]
	s_mov_b64 s[6:7], exec
	s_mov_b64 s[4:5], s[28:29]
	v_writelane_b32 v47, s6, 5
	v_writelane_b32 v47, s7, 6
                                        ; implicit-def: $vgpr76
                                        ; implicit-def: $vgpr41
                                        ; implicit-def: $vgpr1
                                        ; implicit-def: $vgpr0
                                        ; implicit-def: $vgpr2
                                        ; implicit-def: $vgpr74_vgpr75
                                        ; implicit-def: $vgpr72
                                        ; implicit-def: $vgpr46
.LBB8_7:
	s_or_saveexec_b64 s[8:9], s[26:27]
	s_mov_b64 s[6:7], 0
	s_mov_b64 s[10:11], 0
	;; [unrolled: 1-line block ×3, first 2 shown]
	v_writelane_b32 v47, s8, 7
	v_writelane_b32 v47, s9, 8
	s_xor_b64 exec, exec, s[8:9]
	s_cbranch_execz .LBB8_413
; %bb.8:
	s_load_dwordx2 s[4:5], s[4:5], 0x4
	v_bfe_u32 v3, v0, 10, 10
	v_bfe_u32 v0, v0, 20, 10
	v_writelane_b32 v47, s46, 9
	v_writelane_b32 v47, s47, 10
	s_waitcnt lgkmcnt(0)
	s_lshr_b32 s4, s4, 16
	s_mul_i32 s4, s4, s5
	v_mul_u32_u24_e32 v3, s5, v3
	v_mul_lo_u32 v1, s4, v1
	v_add3_u32 v0, v1, v3, v0
	v_lshlrev_b32_e32 v42, 4, v0
	v_mov_b32_e32 v0, s61
	v_mov_b32_e32 v1, s63
	v_cndmask_b32_e64 v4, v0, v1, s[36:37]
	v_mov_b32_e32 v0, s60
	v_writelane_b32 v47, s48, 11
	v_writelane_b32 v47, s49, 12
	;; [unrolled: 1-line block ×15, first 2 shown]
	v_ashrrev_i32_e32 v3, 31, v2
	v_writelane_b32 v47, s63, 26
	v_mov_b32_e32 v1, s62
	v_writelane_b32 v47, s36, 27
	v_cndmask_b32_e64 v5, v0, v1, s[36:37]
	v_lshlrev_b64 v[0:1], 2, v[2:3]
	v_add_co_u32_e32 v40, vcc, v5, v0
	s_mov_b64 s[10:11], src_private_base
	v_writelane_b32 v47, s37, 28
	v_addc_co_u32_e32 v43, vcc, v4, v1, vcc
	s_mov_b64 s[4:5], src_shared_base
	s_add_u32 s8, s44, 0x58
	v_mov_b32_e32 v77, 0
	v_writelane_b32 v47, s44, 29
	s_addc_u32 s9, s45, 0
	v_mov_b32_e32 v0, v40
	v_mov_b32_e32 v1, v43
	;; [unrolled: 1-line block ×9, first 2 shown]
	buffer_store_dword v77, off, s[0:3], 0 offset:8
	v_writelane_b32 v47, s45, 30
	s_getpc_b64 s[6:7]
	s_add_u32 s6, s6, _ZN3sop13minatoIsopRecEPKjS1_iPNS_3SopEP7VecsMemIjLi8192EE@rel32@lo+4
	s_addc_u32 s7, s7, _ZN3sop13minatoIsopRecEPKjS1_iPNS_3SopEP7VecsMemIjLi8192EE@rel32@hi+12
	s_swappc_b64 s[30:31], s[6:7]
	s_mov_b64 s[6:7], 0
                                        ; implicit-def: $sgpr4_sgpr5
                                        ; implicit-def: $sgpr10_sgpr11
                                        ; implicit-def: $sgpr8_sgpr9
	s_branch .LBB8_10
.LBB8_9:                                ;   in Loop: Header=BB8_10 Depth=1
	s_or_b64 exec, exec, s[12:13]
	s_xor_b64 s[12:13], s[8:9], -1
	s_and_b64 s[14:15], exec, s[10:11]
	s_or_b64 s[6:7], s[14:15], s[6:7]
	s_andn2_b64 s[4:5], s[4:5], exec
	s_and_b64 s[12:13], s[12:13], exec
	s_or_b64 s[4:5], s[4:5], s[12:13]
	s_andn2_b64 exec, exec, s[6:7]
	s_cbranch_execz .LBB8_12
.LBB8_10:                               ; =>This Inner Loop Header: Depth=1
	v_cmp_lt_i32_e32 vcc, 0, v76
	s_or_b64 s[8:9], s[8:9], exec
	s_or_b64 s[10:11], s[10:11], exec
	s_and_saveexec_b64 s[12:13], vcc
	s_cbranch_execz .LBB8_9
; %bb.11:                               ;   in Loop: Header=BB8_10 Depth=1
	v_add_u32_e32 v76, -1, v76
	v_lshlrev_b64 v[2:3], 2, v[76:77]
	v_add_co_u32_e32 v4, vcc, v40, v2
	v_addc_co_u32_e32 v5, vcc, v43, v3, vcc
	v_add_co_u32_e32 v2, vcc, v0, v2
	v_addc_co_u32_e32 v3, vcc, v1, v3, vcc
	global_load_dword v4, v[4:5], off
	s_andn2_b64 s[10:11], s[10:11], exec
	flat_load_dword v2, v[2:3]
	s_andn2_b64 s[8:9], s[8:9], exec
	s_waitcnt vmcnt(0) lgkmcnt(0)
	v_cmp_ne_u32_e32 vcc, v4, v2
	s_and_b64 s[14:15], vcc, exec
	s_or_b64 s[10:11], s[10:11], s[14:15]
	s_branch .LBB8_9
.LBB8_12:
	s_or_b64 exec, exec, s[6:7]
	v_readlane_b32 s94, v47, 5
	v_readlane_b32 s95, v47, 6
	s_and_saveexec_b64 s[6:7], s[4:5]
	v_readlane_b32 s44, v47, 29
	s_xor_b64 s[26:27], exec, s[6:7]
	v_readlane_b32 s45, v47, 30
	s_cbranch_execz .LBB8_14
; %bb.13:
	s_add_u32 s8, s44, 0x58
	s_addc_u32 s9, s45, 0
	s_getpc_b64 s[4:5]
	s_add_u32 s4, s4, .str.15@rel32@lo+4
	s_addc_u32 s5, s5, .str.15@rel32@hi+12
	s_getpc_b64 s[6:7]
	s_add_u32 s6, s6, .str.16@rel32@lo+4
	s_addc_u32 s7, s7, .str.16@rel32@hi+12
	s_getpc_b64 s[10:11]
	s_add_u32 s10, s10, __PRETTY_FUNCTION__._ZN3sop10minatoIsopEPKjiP7VecsMemIjLi8192EE@rel32@lo+4
	s_addc_u32 s11, s11, __PRETTY_FUNCTION__._ZN3sop10minatoIsopEPKjiP7VecsMemIjLi8192EE@rel32@hi+12
	v_mov_b32_e32 v0, s4
	v_mov_b32_e32 v1, s5
	;; [unrolled: 1-line block ×7, first 2 shown]
	s_getpc_b64 s[12:13]
	s_add_u32 s12, s12, __assert_fail@rel32@lo+4
	s_addc_u32 s13, s13, __assert_fail@rel32@hi+12
	s_swappc_b64 s[30:31], s[12:13]
	v_readlane_b32 s4, v47, 5
	v_readlane_b32 s5, v47, 6
	s_or_b64 s[94:95], s[4:5], exec
                                        ; implicit-def: $vgpr74_vgpr75
                                        ; implicit-def: $vgpr41
                                        ; implicit-def: $vgpr42
                                        ; implicit-def: $vgpr72
                                        ; implicit-def: $vgpr46
.LBB8_14:
	s_or_saveexec_b64 s[64:65], s[26:27]
	v_readlane_b32 s46, v47, 9
	s_mov_b64 s[4:5], 0
	s_mov_b64 s[8:9], 0
	;; [unrolled: 1-line block ×4, first 2 shown]
	v_readlane_b32 s47, v47, 10
	s_xor_b64 exec, exec, s[64:65]
	s_cbranch_execz .LBB8_412
; %bb.15:
	ds_read_b32 v43, v42 offset:4
	s_mov_b64 s[6:7], 0
	s_mov_b64 s[26:27], 0
	s_waitcnt lgkmcnt(0)
	v_cmp_lt_i32_e32 vcc, 0, v43
	s_and_saveexec_b64 s[4:5], vcc
	s_xor_b64 s[8:9], exec, s[4:5]
	s_cbranch_execz .LBB8_19
; %bb.16:
	v_cmp_eq_u32_e32 vcc, 1, v43
	s_mov_b64 s[4:5], -1
	s_and_saveexec_b64 s[10:11], vcc
	s_cbranch_execz .LBB8_18
; %bb.17:
	ds_read_b64 v[0:1], v42 offset:8
	s_waitcnt lgkmcnt(0)
	flat_load_dword v0, v[0:1]
	s_waitcnt vmcnt(0) lgkmcnt(0)
	v_cmp_eq_u32_e32 vcc, 0, v0
	v_cmp_ne_u32_e64 s[4:5], 0, v0
	s_and_b64 s[6:7], vcc, exec
	s_orn2_b64 s[4:5], s[4:5], exec
.LBB8_18:
	s_or_b64 exec, exec, s[10:11]
	s_and_b64 s[26:27], s[6:7], exec
	s_and_b64 s[6:7], s[4:5], exec
.LBB8_19:
	s_andn2_saveexec_b64 s[4:5], s[8:9]
; %bb.20:
	v_cmp_ne_u32_e32 vcc, 0, v43
	s_andn2_b64 s[6:7], s[6:7], exec
	s_and_b64 s[8:9], vcc, exec
	s_or_b64 s[26:27], s[26:27], exec
	s_or_b64 s[6:7], s[6:7], s[8:9]
; %bb.21:
	s_or_b64 exec, exec, s[4:5]
	s_mov_b64 s[66:67], 0
	s_mov_b64 s[4:5], 0
	;; [unrolled: 1-line block ×3, first 2 shown]
	s_and_saveexec_b64 s[28:29], s[6:7]
	s_cbranch_execz .LBB8_179
; %bb.22:
	v_cmp_lt_i32_e32 vcc, 0, v43
	s_mov_b64 s[4:5], -1
	v_pk_mov_b32 v[44:45], 0, 0
	s_mov_b64 s[38:39], s[94:95]
	s_and_saveexec_b64 s[34:35], vcc
	s_cbranch_execz .LBB8_165
; %bb.23:
	buffer_load_dword v0, off, s[0:3], 0 offset:8
	s_movk_i32 s4, 0x2001
	s_mov_b64 s[36:37], 0
	v_pk_mov_b32 v[44:45], 0, 0
	s_waitcnt vmcnt(0)
	v_add_u32_e32 v1, v0, v43
	v_cmp_gt_i32_e32 vcc, s4, v1
	s_and_saveexec_b64 s[4:5], vcc
	s_xor_b64 s[4:5], exec, s[4:5]
	s_cbranch_execz .LBB8_25
; %bb.24:
	buffer_store_dword v1, off, s[0:3], 0 offset:8
	v_lshlrev_b32_e32 v0, 2, v0
	v_mov_b32_e32 v1, 8
	s_mov_b64 s[6:7], src_private_base
	s_mov_b64 s[36:37], exec
	v_add3_u32 v44, v1, v0, 4
	v_mov_b32_e32 v45, s7
.LBB8_25:
	s_or_saveexec_b64 s[38:39], s[4:5]
	s_mov_b64 s[4:5], s[94:95]
	s_xor_b64 exec, exec, s[38:39]
	s_cbranch_execz .LBB8_164
; %bb.26:
	v_readlane_b32 s4, v47, 0
	v_readlane_b32 s5, v47, 1
	s_load_dwordx2 s[6:7], s[4:5], 0x50
	v_mbcnt_lo_u32_b32 v0, -1, 0
	v_mbcnt_hi_u32_b32 v31, -1, v0
	v_readfirstlane_b32 s4, v31
	v_cmp_eq_u32_e64 s[4:5], s4, v31
	v_pk_mov_b32 v[6:7], 0, 0
	s_and_saveexec_b64 s[8:9], s[4:5]
	s_cbranch_execz .LBB8_31
; %bb.27:
	v_mov_b32_e32 v0, 0
	s_waitcnt lgkmcnt(0)
	global_load_dwordx2 v[4:5], v0, s[6:7] offset:24 glc
	s_waitcnt vmcnt(0)
	buffer_invl2
	buffer_wbinvl1_vol
	global_load_dwordx2 v[2:3], v0, s[6:7] offset:40
	global_load_dwordx2 v[6:7], v0, s[6:7]
	s_waitcnt vmcnt(1)
	v_and_b32_e32 v1, v2, v4
	v_and_b32_e32 v2, v3, v5
	v_mul_lo_u32 v2, v2, 24
	v_mul_hi_u32 v3, v1, 24
	v_mul_lo_u32 v1, v1, 24
	v_add_u32_e32 v3, v3, v2
	s_waitcnt vmcnt(0)
	v_add_co_u32_e32 v2, vcc, v6, v1
	v_addc_co_u32_e32 v3, vcc, v7, v3, vcc
	global_load_dwordx2 v[2:3], v[2:3], off glc
	s_waitcnt vmcnt(0)
	global_atomic_cmpswap_x2 v[6:7], v0, v[2:5], s[6:7] offset:24 glc
	s_waitcnt vmcnt(0)
	buffer_invl2
	buffer_wbinvl1_vol
	v_cmp_ne_u64_e32 vcc, v[6:7], v[4:5]
	s_and_saveexec_b64 s[10:11], vcc
	s_cbranch_execz .LBB8_30
.LBB8_28:                               ; =>This Inner Loop Header: Depth=1
	s_sleep 1
	global_load_dwordx2 v[2:3], v0, s[6:7] offset:40
	global_load_dwordx2 v[8:9], v0, s[6:7]
	v_pk_mov_b32 v[4:5], v[6:7], v[6:7] op_sel:[0,1]
	s_waitcnt vmcnt(1)
	v_and_b32_e32 v2, v2, v4
	v_and_b32_e32 v1, v3, v5
	s_waitcnt vmcnt(0)
	v_mad_u64_u32 v[2:3], s[14:15], v2, 24, v[8:9]
	v_mov_b32_e32 v6, v3
	v_mad_u64_u32 v[6:7], s[14:15], v1, 24, v[6:7]
	v_mov_b32_e32 v3, v6
	global_load_dwordx2 v[2:3], v[2:3], off glc
	s_waitcnt vmcnt(0)
	global_atomic_cmpswap_x2 v[6:7], v0, v[2:5], s[6:7] offset:24 glc
	s_waitcnt vmcnt(0)
	buffer_invl2
	buffer_wbinvl1_vol
	v_cmp_eq_u64_e32 vcc, v[6:7], v[4:5]
	s_or_b64 s[12:13], vcc, s[12:13]
	s_andn2_b64 exec, exec, s[12:13]
	s_cbranch_execnz .LBB8_28
; %bb.29:
	s_or_b64 exec, exec, s[12:13]
.LBB8_30:
	s_or_b64 exec, exec, s[10:11]
.LBB8_31:
	s_or_b64 exec, exec, s[8:9]
	v_mov_b32_e32 v5, 0
	s_waitcnt lgkmcnt(0)
	global_load_dwordx2 v[8:9], v5, s[6:7] offset:40
	global_load_dwordx4 v[0:3], v5, s[6:7]
	v_readfirstlane_b32 s8, v6
	v_readfirstlane_b32 s9, v7
	s_mov_b64 s[10:11], exec
	s_waitcnt vmcnt(1)
	v_readfirstlane_b32 s12, v8
	v_readfirstlane_b32 s13, v9
	s_and_b64 s[12:13], s[8:9], s[12:13]
	s_mul_i32 s14, s13, 24
	s_mul_hi_u32 s15, s12, 24
	s_mul_i32 s16, s12, 24
	s_add_i32 s14, s15, s14
	v_mov_b32_e32 v4, s14
	s_waitcnt vmcnt(0)
	v_add_co_u32_e32 v8, vcc, s16, v0
	v_addc_co_u32_e32 v9, vcc, v1, v4, vcc
	s_and_saveexec_b64 s[14:15], s[4:5]
	s_cbranch_execz .LBB8_33
; %bb.32:
	v_pk_mov_b32 v[10:11], s[10:11], s[10:11] op_sel:[0,1]
	v_mov_b32_e32 v12, 2
	v_mov_b32_e32 v13, 1
	global_store_dwordx4 v[8:9], v[10:13], off offset:8
.LBB8_33:
	s_or_b64 exec, exec, s[14:15]
	s_lshl_b64 s[10:11], s[12:13], 12
	v_mov_b32_e32 v4, s11
	v_add_co_u32_e32 v2, vcc, s10, v2
	v_addc_co_u32_e32 v3, vcc, v3, v4, vcc
	s_mov_b32 s12, 0
	v_lshlrev_b32_e32 v30, 6, v31
	v_add_co_u32_e32 v10, vcc, v2, v30
	v_mov_b32_e32 v4, 33
	v_mov_b32_e32 v6, v5
	;; [unrolled: 1-line block ×3, first 2 shown]
	v_readfirstlane_b32 s10, v2
	v_readfirstlane_b32 s11, v3
	s_mov_b32 s13, s12
	v_addc_co_u32_e32 v11, vcc, 0, v3, vcc
	s_mov_b32 s14, s12
	s_mov_b32 s15, s12
	s_nop 0
	global_store_dwordx4 v30, v[4:7], s[10:11]
	v_pk_mov_b32 v[2:3], s[12:13], s[12:13] op_sel:[0,1]
	v_pk_mov_b32 v[4:5], s[14:15], s[14:15] op_sel:[0,1]
	global_store_dwordx4 v30, v[2:5], s[10:11] offset:16
	global_store_dwordx4 v30, v[2:5], s[10:11] offset:32
	;; [unrolled: 1-line block ×3, first 2 shown]
	s_and_saveexec_b64 s[10:11], s[4:5]
	s_cbranch_execz .LBB8_41
; %bb.34:
	v_mov_b32_e32 v6, 0
	global_load_dwordx2 v[14:15], v6, s[6:7] offset:32 glc
	global_load_dwordx2 v[2:3], v6, s[6:7] offset:40
	v_mov_b32_e32 v12, s8
	v_mov_b32_e32 v13, s9
	s_waitcnt vmcnt(0)
	v_and_b32_e32 v2, s8, v2
	v_and_b32_e32 v3, s9, v3
	v_mul_lo_u32 v3, v3, 24
	v_mul_hi_u32 v4, v2, 24
	v_mul_lo_u32 v2, v2, 24
	v_add_u32_e32 v3, v4, v3
	v_add_co_u32_e32 v4, vcc, v0, v2
	v_addc_co_u32_e32 v5, vcc, v1, v3, vcc
	global_store_dwordx2 v[4:5], v[14:15], off
	buffer_wbl2
	s_waitcnt vmcnt(0)
	global_atomic_cmpswap_x2 v[2:3], v6, v[12:15], s[6:7] offset:32 glc
	s_waitcnt vmcnt(0)
	v_cmp_ne_u64_e32 vcc, v[2:3], v[14:15]
	s_and_saveexec_b64 s[12:13], vcc
	s_cbranch_execz .LBB8_37
; %bb.35:
	s_mov_b64 s[14:15], 0
.LBB8_36:                               ; =>This Inner Loop Header: Depth=1
	s_sleep 1
	global_store_dwordx2 v[4:5], v[2:3], off
	v_mov_b32_e32 v0, s8
	v_mov_b32_e32 v1, s9
	buffer_wbl2
	s_waitcnt vmcnt(0)
	global_atomic_cmpswap_x2 v[0:1], v6, v[0:3], s[6:7] offset:32 glc
	s_waitcnt vmcnt(0)
	v_cmp_eq_u64_e32 vcc, v[0:1], v[2:3]
	s_or_b64 s[14:15], vcc, s[14:15]
	v_pk_mov_b32 v[2:3], v[0:1], v[0:1] op_sel:[0,1]
	s_andn2_b64 exec, exec, s[14:15]
	s_cbranch_execnz .LBB8_36
.LBB8_37:
	s_or_b64 exec, exec, s[12:13]
	v_mov_b32_e32 v3, 0
	global_load_dwordx2 v[0:1], v3, s[6:7] offset:16
	s_mov_b64 s[12:13], exec
	v_mbcnt_lo_u32_b32 v2, s12, 0
	v_mbcnt_hi_u32_b32 v2, s13, v2
	v_cmp_eq_u32_e32 vcc, 0, v2
	s_and_saveexec_b64 s[14:15], vcc
	s_cbranch_execz .LBB8_39
; %bb.38:
	s_bcnt1_i32_b64 s12, s[12:13]
	v_mov_b32_e32 v2, s12
	buffer_wbl2
	s_waitcnt vmcnt(0)
	global_atomic_add_x2 v[0:1], v[2:3], off offset:8
.LBB8_39:
	s_or_b64 exec, exec, s[14:15]
	s_waitcnt vmcnt(0)
	global_load_dwordx2 v[2:3], v[0:1], off offset:16
	s_waitcnt vmcnt(0)
	v_cmp_eq_u64_e32 vcc, 0, v[2:3]
	s_cbranch_vccnz .LBB8_41
; %bb.40:
	global_load_dword v0, v[0:1], off offset:24
	v_mov_b32_e32 v1, 0
	buffer_wbl2
	s_waitcnt vmcnt(0)
	global_store_dwordx2 v[2:3], v[0:1], off
	v_and_b32_e32 v0, 0xffffff, v0
	v_readfirstlane_b32 m0, v0
	s_sendmsg sendmsg(MSG_INTERRUPT)
.LBB8_41:
	s_or_b64 exec, exec, s[10:11]
	s_branch .LBB8_45
.LBB8_42:                               ;   in Loop: Header=BB8_45 Depth=1
	s_or_b64 exec, exec, s[10:11]
	v_readfirstlane_b32 s10, v0
	s_cmp_eq_u32 s10, 0
	s_cbranch_scc1 .LBB8_44
; %bb.43:                               ;   in Loop: Header=BB8_45 Depth=1
	s_sleep 1
	s_cbranch_execnz .LBB8_45
	s_branch .LBB8_47
.LBB8_44:
	s_branch .LBB8_47
.LBB8_45:                               ; =>This Inner Loop Header: Depth=1
	v_mov_b32_e32 v0, 1
	s_and_saveexec_b64 s[10:11], s[4:5]
	s_cbranch_execz .LBB8_42
; %bb.46:                               ;   in Loop: Header=BB8_45 Depth=1
	global_load_dword v0, v[8:9], off offset:20 glc
	s_waitcnt vmcnt(0)
	buffer_invl2
	buffer_wbinvl1_vol
	v_and_b32_e32 v0, 1, v0
	s_branch .LBB8_42
.LBB8_47:
	global_load_dwordx2 v[0:1], v[10:11], off
	s_and_saveexec_b64 s[10:11], s[4:5]
	s_cbranch_execz .LBB8_50
; %bb.48:
	v_mov_b32_e32 v8, 0
	global_load_dwordx2 v[6:7], v8, s[6:7] offset:40
	global_load_dwordx2 v[10:11], v8, s[6:7] offset:24 glc
	global_load_dwordx2 v[12:13], v8, s[6:7]
	v_mov_b32_e32 v3, s9
	s_mov_b64 s[4:5], 0
	s_waitcnt vmcnt(2)
	v_add_co_u32_e32 v5, vcc, 1, v6
	v_addc_co_u32_e32 v9, vcc, 0, v7, vcc
	v_add_co_u32_e32 v2, vcc, s8, v5
	v_addc_co_u32_e32 v3, vcc, v9, v3, vcc
	v_cmp_eq_u64_e32 vcc, 0, v[2:3]
	v_cndmask_b32_e32 v3, v3, v9, vcc
	v_cndmask_b32_e32 v2, v2, v5, vcc
	v_and_b32_e32 v5, v3, v7
	v_and_b32_e32 v6, v2, v6
	v_mul_lo_u32 v5, v5, 24
	v_mul_hi_u32 v7, v6, 24
	v_mul_lo_u32 v6, v6, 24
	v_add_u32_e32 v5, v7, v5
	s_waitcnt vmcnt(0)
	v_add_co_u32_e32 v6, vcc, v12, v6
	v_addc_co_u32_e32 v7, vcc, v13, v5, vcc
	v_mov_b32_e32 v4, v10
	global_store_dwordx2 v[6:7], v[10:11], off
	v_mov_b32_e32 v5, v11
	buffer_wbl2
	s_waitcnt vmcnt(0)
	global_atomic_cmpswap_x2 v[4:5], v8, v[2:5], s[6:7] offset:24 glc
	s_waitcnt vmcnt(0)
	v_cmp_ne_u64_e32 vcc, v[4:5], v[10:11]
	s_and_b64 exec, exec, vcc
	s_cbranch_execz .LBB8_50
.LBB8_49:                               ; =>This Inner Loop Header: Depth=1
	s_sleep 1
	global_store_dwordx2 v[6:7], v[4:5], off
	buffer_wbl2
	s_waitcnt vmcnt(0)
	global_atomic_cmpswap_x2 v[10:11], v8, v[2:5], s[6:7] offset:24 glc
	s_waitcnt vmcnt(0)
	v_cmp_eq_u64_e32 vcc, v[10:11], v[4:5]
	s_or_b64 s[4:5], vcc, s[4:5]
	v_pk_mov_b32 v[4:5], v[10:11], v[10:11] op_sel:[0,1]
	s_andn2_b64 exec, exec, s[4:5]
	s_cbranch_execnz .LBB8_49
.LBB8_50:
	s_or_b64 exec, exec, s[10:11]
	s_getpc_b64 s[8:9]
	s_add_u32 s8, s8, .str.28@rel32@lo+4
	s_addc_u32 s9, s9, .str.28@rel32@hi+12
	s_cmp_lg_u64 s[8:9], 0
	s_cbranch_scc0 .LBB8_135
; %bb.51:
	s_waitcnt vmcnt(0)
	v_and_b32_e32 v6, -3, v0
	v_mov_b32_e32 v7, v1
	s_mov_b64 s[10:11], 35
	v_mov_b32_e32 v27, 0
	v_mov_b32_e32 v4, 2
	;; [unrolled: 1-line block ×3, first 2 shown]
	s_branch .LBB8_53
.LBB8_52:                               ;   in Loop: Header=BB8_53 Depth=1
	s_or_b64 exec, exec, s[16:17]
	s_sub_u32 s10, s10, s12
	s_subb_u32 s11, s11, s13
	s_add_u32 s8, s8, s12
	s_addc_u32 s9, s9, s13
	s_cmp_lg_u64 s[10:11], 0
	s_cbranch_scc0 .LBB8_134
.LBB8_53:                               ; =>This Loop Header: Depth=1
                                        ;     Child Loop BB8_56 Depth 2
                                        ;     Child Loop BB8_63 Depth 2
	;; [unrolled: 1-line block ×11, first 2 shown]
	v_cmp_lt_u64_e64 s[4:5], s[10:11], 56
	s_and_b64 s[4:5], s[4:5], exec
	v_cmp_gt_u64_e64 s[4:5], s[10:11], 7
	s_cselect_b32 s13, s11, 0
	s_cselect_b32 s12, s10, 56
	s_and_b64 vcc, exec, s[4:5]
	s_cbranch_vccnz .LBB8_58
; %bb.54:                               ;   in Loop: Header=BB8_53 Depth=1
	s_mov_b64 s[4:5], 0
	s_cmp_eq_u64 s[10:11], 0
	s_waitcnt vmcnt(0)
	v_pk_mov_b32 v[8:9], 0, 0
	s_cbranch_scc1 .LBB8_57
; %bb.55:                               ;   in Loop: Header=BB8_53 Depth=1
	s_lshl_b64 s[14:15], s[12:13], 3
	s_mov_b64 s[16:17], 0
	v_pk_mov_b32 v[8:9], 0, 0
	s_mov_b64 s[18:19], s[8:9]
.LBB8_56:                               ;   Parent Loop BB8_53 Depth=1
                                        ; =>  This Inner Loop Header: Depth=2
	global_load_ubyte v2, v27, s[18:19]
	s_waitcnt vmcnt(0)
	v_and_b32_e32 v26, 0xffff, v2
	v_lshlrev_b64 v[2:3], s16, v[26:27]
	s_add_u32 s16, s16, 8
	s_addc_u32 s17, s17, 0
	s_add_u32 s18, s18, 1
	s_addc_u32 s19, s19, 0
	v_or_b32_e32 v8, v2, v8
	s_cmp_lg_u32 s14, s16
	v_or_b32_e32 v9, v3, v9
	s_cbranch_scc1 .LBB8_56
.LBB8_57:                               ;   in Loop: Header=BB8_53 Depth=1
	s_mov_b32 s18, 0
	s_andn2_b64 vcc, exec, s[4:5]
	s_mov_b64 s[4:5], s[8:9]
	s_cbranch_vccz .LBB8_59
	s_branch .LBB8_60
.LBB8_58:                               ;   in Loop: Header=BB8_53 Depth=1
                                        ; implicit-def: $sgpr18
	s_mov_b64 s[4:5], s[8:9]
.LBB8_59:                               ;   in Loop: Header=BB8_53 Depth=1
	global_load_dwordx2 v[8:9], v27, s[8:9]
	s_add_i32 s18, s12, -8
	s_add_u32 s4, s8, 8
	s_addc_u32 s5, s9, 0
.LBB8_60:                               ;   in Loop: Header=BB8_53 Depth=1
	s_cmp_gt_u32 s18, 7
	s_cbranch_scc1 .LBB8_64
; %bb.61:                               ;   in Loop: Header=BB8_53 Depth=1
	s_cmp_eq_u32 s18, 0
	s_cbranch_scc1 .LBB8_65
; %bb.62:                               ;   in Loop: Header=BB8_53 Depth=1
	s_mov_b64 s[14:15], 0
	v_pk_mov_b32 v[10:11], 0, 0
	s_mov_b64 s[16:17], 0
.LBB8_63:                               ;   Parent Loop BB8_53 Depth=1
                                        ; =>  This Inner Loop Header: Depth=2
	s_add_u32 s20, s4, s16
	s_addc_u32 s21, s5, s17
	global_load_ubyte v2, v27, s[20:21]
	s_add_u32 s16, s16, 1
	s_addc_u32 s17, s17, 0
	s_waitcnt vmcnt(0)
	v_and_b32_e32 v26, 0xffff, v2
	v_lshlrev_b64 v[2:3], s14, v[26:27]
	s_add_u32 s14, s14, 8
	s_addc_u32 s15, s15, 0
	v_or_b32_e32 v10, v2, v10
	s_cmp_lg_u32 s18, s16
	v_or_b32_e32 v11, v3, v11
	s_cbranch_scc1 .LBB8_63
	s_branch .LBB8_66
.LBB8_64:                               ;   in Loop: Header=BB8_53 Depth=1
                                        ; implicit-def: $vgpr10_vgpr11
                                        ; implicit-def: $sgpr19
	s_branch .LBB8_67
.LBB8_65:                               ;   in Loop: Header=BB8_53 Depth=1
	v_pk_mov_b32 v[10:11], 0, 0
.LBB8_66:                               ;   in Loop: Header=BB8_53 Depth=1
	s_mov_b32 s19, 0
	s_cbranch_execnz .LBB8_68
.LBB8_67:                               ;   in Loop: Header=BB8_53 Depth=1
	global_load_dwordx2 v[10:11], v27, s[4:5]
	s_add_i32 s19, s18, -8
	s_add_u32 s4, s4, 8
	s_addc_u32 s5, s5, 0
.LBB8_68:                               ;   in Loop: Header=BB8_53 Depth=1
	s_cmp_gt_u32 s19, 7
	s_cbranch_scc1 .LBB8_72
; %bb.69:                               ;   in Loop: Header=BB8_53 Depth=1
	s_cmp_eq_u32 s19, 0
	s_cbranch_scc1 .LBB8_73
; %bb.70:                               ;   in Loop: Header=BB8_53 Depth=1
	s_mov_b64 s[14:15], 0
	v_pk_mov_b32 v[12:13], 0, 0
	s_mov_b64 s[16:17], 0
.LBB8_71:                               ;   Parent Loop BB8_53 Depth=1
                                        ; =>  This Inner Loop Header: Depth=2
	s_add_u32 s20, s4, s16
	s_addc_u32 s21, s5, s17
	global_load_ubyte v2, v27, s[20:21]
	s_add_u32 s16, s16, 1
	s_addc_u32 s17, s17, 0
	s_waitcnt vmcnt(0)
	v_and_b32_e32 v26, 0xffff, v2
	v_lshlrev_b64 v[2:3], s14, v[26:27]
	s_add_u32 s14, s14, 8
	s_addc_u32 s15, s15, 0
	v_or_b32_e32 v12, v2, v12
	s_cmp_lg_u32 s19, s16
	v_or_b32_e32 v13, v3, v13
	s_cbranch_scc1 .LBB8_71
	s_branch .LBB8_74
.LBB8_72:                               ;   in Loop: Header=BB8_53 Depth=1
                                        ; implicit-def: $sgpr18
	s_branch .LBB8_75
.LBB8_73:                               ;   in Loop: Header=BB8_53 Depth=1
	v_pk_mov_b32 v[12:13], 0, 0
.LBB8_74:                               ;   in Loop: Header=BB8_53 Depth=1
	s_mov_b32 s18, 0
	s_cbranch_execnz .LBB8_76
.LBB8_75:                               ;   in Loop: Header=BB8_53 Depth=1
	global_load_dwordx2 v[12:13], v27, s[4:5]
	s_add_i32 s18, s19, -8
	s_add_u32 s4, s4, 8
	s_addc_u32 s5, s5, 0
.LBB8_76:                               ;   in Loop: Header=BB8_53 Depth=1
	s_cmp_gt_u32 s18, 7
	s_cbranch_scc1 .LBB8_80
; %bb.77:                               ;   in Loop: Header=BB8_53 Depth=1
	s_cmp_eq_u32 s18, 0
	s_cbranch_scc1 .LBB8_81
; %bb.78:                               ;   in Loop: Header=BB8_53 Depth=1
	s_mov_b64 s[14:15], 0
	v_pk_mov_b32 v[14:15], 0, 0
	s_mov_b64 s[16:17], 0
.LBB8_79:                               ;   Parent Loop BB8_53 Depth=1
                                        ; =>  This Inner Loop Header: Depth=2
	s_add_u32 s20, s4, s16
	s_addc_u32 s21, s5, s17
	global_load_ubyte v2, v27, s[20:21]
	s_add_u32 s16, s16, 1
	s_addc_u32 s17, s17, 0
	s_waitcnt vmcnt(0)
	v_and_b32_e32 v26, 0xffff, v2
	v_lshlrev_b64 v[2:3], s14, v[26:27]
	s_add_u32 s14, s14, 8
	s_addc_u32 s15, s15, 0
	v_or_b32_e32 v14, v2, v14
	s_cmp_lg_u32 s18, s16
	v_or_b32_e32 v15, v3, v15
	s_cbranch_scc1 .LBB8_79
	s_branch .LBB8_82
.LBB8_80:                               ;   in Loop: Header=BB8_53 Depth=1
                                        ; implicit-def: $vgpr14_vgpr15
                                        ; implicit-def: $sgpr19
	s_branch .LBB8_83
.LBB8_81:                               ;   in Loop: Header=BB8_53 Depth=1
	v_pk_mov_b32 v[14:15], 0, 0
.LBB8_82:                               ;   in Loop: Header=BB8_53 Depth=1
	s_mov_b32 s19, 0
	s_cbranch_execnz .LBB8_84
.LBB8_83:                               ;   in Loop: Header=BB8_53 Depth=1
	global_load_dwordx2 v[14:15], v27, s[4:5]
	s_add_i32 s19, s18, -8
	s_add_u32 s4, s4, 8
	s_addc_u32 s5, s5, 0
.LBB8_84:                               ;   in Loop: Header=BB8_53 Depth=1
	s_cmp_gt_u32 s19, 7
	s_cbranch_scc1 .LBB8_88
; %bb.85:                               ;   in Loop: Header=BB8_53 Depth=1
	s_cmp_eq_u32 s19, 0
	s_cbranch_scc1 .LBB8_89
; %bb.86:                               ;   in Loop: Header=BB8_53 Depth=1
	s_mov_b64 s[14:15], 0
	v_pk_mov_b32 v[16:17], 0, 0
	s_mov_b64 s[16:17], 0
.LBB8_87:                               ;   Parent Loop BB8_53 Depth=1
                                        ; =>  This Inner Loop Header: Depth=2
	s_add_u32 s20, s4, s16
	s_addc_u32 s21, s5, s17
	global_load_ubyte v2, v27, s[20:21]
	s_add_u32 s16, s16, 1
	s_addc_u32 s17, s17, 0
	s_waitcnt vmcnt(0)
	v_and_b32_e32 v26, 0xffff, v2
	v_lshlrev_b64 v[2:3], s14, v[26:27]
	s_add_u32 s14, s14, 8
	s_addc_u32 s15, s15, 0
	v_or_b32_e32 v16, v2, v16
	s_cmp_lg_u32 s19, s16
	v_or_b32_e32 v17, v3, v17
	s_cbranch_scc1 .LBB8_87
	s_branch .LBB8_90
.LBB8_88:                               ;   in Loop: Header=BB8_53 Depth=1
                                        ; implicit-def: $sgpr18
	s_branch .LBB8_91
.LBB8_89:                               ;   in Loop: Header=BB8_53 Depth=1
	v_pk_mov_b32 v[16:17], 0, 0
.LBB8_90:                               ;   in Loop: Header=BB8_53 Depth=1
	s_mov_b32 s18, 0
	s_cbranch_execnz .LBB8_92
.LBB8_91:                               ;   in Loop: Header=BB8_53 Depth=1
	global_load_dwordx2 v[16:17], v27, s[4:5]
	s_add_i32 s18, s19, -8
	s_add_u32 s4, s4, 8
	s_addc_u32 s5, s5, 0
.LBB8_92:                               ;   in Loop: Header=BB8_53 Depth=1
	s_cmp_gt_u32 s18, 7
	s_cbranch_scc1 .LBB8_96
; %bb.93:                               ;   in Loop: Header=BB8_53 Depth=1
	s_cmp_eq_u32 s18, 0
	s_cbranch_scc1 .LBB8_97
; %bb.94:                               ;   in Loop: Header=BB8_53 Depth=1
	s_mov_b64 s[14:15], 0
	v_pk_mov_b32 v[18:19], 0, 0
	s_mov_b64 s[16:17], 0
.LBB8_95:                               ;   Parent Loop BB8_53 Depth=1
                                        ; =>  This Inner Loop Header: Depth=2
	s_add_u32 s20, s4, s16
	s_addc_u32 s21, s5, s17
	global_load_ubyte v2, v27, s[20:21]
	s_add_u32 s16, s16, 1
	s_addc_u32 s17, s17, 0
	s_waitcnt vmcnt(0)
	v_and_b32_e32 v26, 0xffff, v2
	v_lshlrev_b64 v[2:3], s14, v[26:27]
	s_add_u32 s14, s14, 8
	s_addc_u32 s15, s15, 0
	v_or_b32_e32 v18, v2, v18
	s_cmp_lg_u32 s18, s16
	v_or_b32_e32 v19, v3, v19
	s_cbranch_scc1 .LBB8_95
	s_branch .LBB8_98
.LBB8_96:                               ;   in Loop: Header=BB8_53 Depth=1
                                        ; implicit-def: $vgpr18_vgpr19
                                        ; implicit-def: $sgpr19
	s_branch .LBB8_99
.LBB8_97:                               ;   in Loop: Header=BB8_53 Depth=1
	v_pk_mov_b32 v[18:19], 0, 0
.LBB8_98:                               ;   in Loop: Header=BB8_53 Depth=1
	s_mov_b32 s19, 0
	s_cbranch_execnz .LBB8_100
.LBB8_99:                               ;   in Loop: Header=BB8_53 Depth=1
	global_load_dwordx2 v[18:19], v27, s[4:5]
	s_add_i32 s19, s18, -8
	s_add_u32 s4, s4, 8
	s_addc_u32 s5, s5, 0
.LBB8_100:                              ;   in Loop: Header=BB8_53 Depth=1
	s_cmp_gt_u32 s19, 7
	s_cbranch_scc1 .LBB8_104
; %bb.101:                              ;   in Loop: Header=BB8_53 Depth=1
	s_cmp_eq_u32 s19, 0
	s_cbranch_scc1 .LBB8_105
; %bb.102:                              ;   in Loop: Header=BB8_53 Depth=1
	s_mov_b64 s[14:15], 0
	v_pk_mov_b32 v[20:21], 0, 0
	s_mov_b64 s[16:17], s[4:5]
.LBB8_103:                              ;   Parent Loop BB8_53 Depth=1
                                        ; =>  This Inner Loop Header: Depth=2
	global_load_ubyte v2, v27, s[16:17]
	s_add_i32 s19, s19, -1
	s_waitcnt vmcnt(0)
	v_and_b32_e32 v26, 0xffff, v2
	v_lshlrev_b64 v[2:3], s14, v[26:27]
	s_add_u32 s14, s14, 8
	s_addc_u32 s15, s15, 0
	s_add_u32 s16, s16, 1
	s_addc_u32 s17, s17, 0
	v_or_b32_e32 v20, v2, v20
	s_cmp_lg_u32 s19, 0
	v_or_b32_e32 v21, v3, v21
	s_cbranch_scc1 .LBB8_103
	s_branch .LBB8_106
.LBB8_104:                              ;   in Loop: Header=BB8_53 Depth=1
	s_branch .LBB8_107
.LBB8_105:                              ;   in Loop: Header=BB8_53 Depth=1
	v_pk_mov_b32 v[20:21], 0, 0
.LBB8_106:                              ;   in Loop: Header=BB8_53 Depth=1
	s_cbranch_execnz .LBB8_108
.LBB8_107:                              ;   in Loop: Header=BB8_53 Depth=1
	global_load_dwordx2 v[20:21], v27, s[4:5]
.LBB8_108:                              ;   in Loop: Header=BB8_53 Depth=1
	v_readfirstlane_b32 s4, v31
	v_cmp_eq_u32_e64 s[4:5], s4, v31
	v_pk_mov_b32 v[2:3], 0, 0
	s_and_saveexec_b64 s[14:15], s[4:5]
	s_cbranch_execz .LBB8_114
; %bb.109:                              ;   in Loop: Header=BB8_53 Depth=1
	global_load_dwordx2 v[24:25], v27, s[6:7] offset:24 glc
	s_waitcnt vmcnt(0)
	buffer_invl2
	buffer_wbinvl1_vol
	global_load_dwordx2 v[2:3], v27, s[6:7] offset:40
	global_load_dwordx2 v[22:23], v27, s[6:7]
	s_waitcnt vmcnt(1)
	v_and_b32_e32 v2, v2, v24
	v_and_b32_e32 v3, v3, v25
	v_mul_lo_u32 v3, v3, 24
	v_mul_hi_u32 v26, v2, 24
	v_mul_lo_u32 v2, v2, 24
	v_add_u32_e32 v3, v26, v3
	s_waitcnt vmcnt(0)
	v_add_co_u32_e32 v2, vcc, v22, v2
	v_addc_co_u32_e32 v3, vcc, v23, v3, vcc
	global_load_dwordx2 v[22:23], v[2:3], off glc
	s_waitcnt vmcnt(0)
	global_atomic_cmpswap_x2 v[2:3], v27, v[22:25], s[6:7] offset:24 glc
	s_waitcnt vmcnt(0)
	buffer_invl2
	buffer_wbinvl1_vol
	v_cmp_ne_u64_e32 vcc, v[2:3], v[24:25]
	s_and_saveexec_b64 s[16:17], vcc
	s_cbranch_execz .LBB8_113
; %bb.110:                              ;   in Loop: Header=BB8_53 Depth=1
	s_mov_b64 s[18:19], 0
.LBB8_111:                              ;   Parent Loop BB8_53 Depth=1
                                        ; =>  This Inner Loop Header: Depth=2
	s_sleep 1
	global_load_dwordx2 v[22:23], v27, s[6:7] offset:40
	global_load_dwordx2 v[28:29], v27, s[6:7]
	v_pk_mov_b32 v[24:25], v[2:3], v[2:3] op_sel:[0,1]
	s_waitcnt vmcnt(1)
	v_and_b32_e32 v2, v22, v24
	s_waitcnt vmcnt(0)
	v_mad_u64_u32 v[2:3], s[20:21], v2, 24, v[28:29]
	v_and_b32_e32 v23, v23, v25
	v_mov_b32_e32 v22, v3
	v_mad_u64_u32 v[22:23], s[20:21], v23, 24, v[22:23]
	v_mov_b32_e32 v3, v22
	global_load_dwordx2 v[22:23], v[2:3], off glc
	s_waitcnt vmcnt(0)
	global_atomic_cmpswap_x2 v[2:3], v27, v[22:25], s[6:7] offset:24 glc
	s_waitcnt vmcnt(0)
	buffer_invl2
	buffer_wbinvl1_vol
	v_cmp_eq_u64_e32 vcc, v[2:3], v[24:25]
	s_or_b64 s[18:19], vcc, s[18:19]
	s_andn2_b64 exec, exec, s[18:19]
	s_cbranch_execnz .LBB8_111
; %bb.112:                              ;   in Loop: Header=BB8_53 Depth=1
	s_or_b64 exec, exec, s[18:19]
.LBB8_113:                              ;   in Loop: Header=BB8_53 Depth=1
	s_or_b64 exec, exec, s[16:17]
.LBB8_114:                              ;   in Loop: Header=BB8_53 Depth=1
	s_or_b64 exec, exec, s[14:15]
	global_load_dwordx2 v[28:29], v27, s[6:7] offset:40
	global_load_dwordx4 v[22:25], v27, s[6:7]
	v_readfirstlane_b32 s14, v2
	v_readfirstlane_b32 s15, v3
	s_mov_b64 s[16:17], exec
	s_waitcnt vmcnt(1)
	v_readfirstlane_b32 s18, v28
	v_readfirstlane_b32 s19, v29
	s_and_b64 s[18:19], s[14:15], s[18:19]
	s_mul_i32 s20, s19, 24
	s_mul_hi_u32 s21, s18, 24
	s_mul_i32 s22, s18, 24
	s_add_i32 s20, s21, s20
	v_mov_b32_e32 v2, s20
	s_waitcnt vmcnt(0)
	v_add_co_u32_e32 v28, vcc, s22, v22
	v_addc_co_u32_e32 v29, vcc, v23, v2, vcc
	s_and_saveexec_b64 s[20:21], s[4:5]
	s_cbranch_execz .LBB8_116
; %bb.115:                              ;   in Loop: Header=BB8_53 Depth=1
	v_pk_mov_b32 v[2:3], s[16:17], s[16:17] op_sel:[0,1]
	global_store_dwordx4 v[28:29], v[2:5], off offset:8
.LBB8_116:                              ;   in Loop: Header=BB8_53 Depth=1
	s_or_b64 exec, exec, s[20:21]
	s_lshl_b64 s[16:17], s[18:19], 12
	v_mov_b32_e32 v3, s17
	v_add_co_u32_e32 v2, vcc, s16, v24
	v_addc_co_u32_e32 v3, vcc, v25, v3, vcc
	v_or_b32_e32 v24, 2, v6
	v_cmp_gt_u64_e64 vcc, s[10:11], 56
	s_lshl_b32 s16, s12, 2
	v_cndmask_b32_e32 v6, v24, v6, vcc
	s_add_i32 s16, s16, 28
	s_and_b32 s16, s16, 0x1e0
	v_and_b32_e32 v6, 0xffffff1f, v6
	v_or_b32_e32 v6, s16, v6
	v_readfirstlane_b32 s16, v2
	v_readfirstlane_b32 s17, v3
	s_nop 4
	global_store_dwordx4 v30, v[6:9], s[16:17]
	global_store_dwordx4 v30, v[10:13], s[16:17] offset:16
	global_store_dwordx4 v30, v[14:17], s[16:17] offset:32
	;; [unrolled: 1-line block ×3, first 2 shown]
	s_and_saveexec_b64 s[16:17], s[4:5]
	s_cbranch_execz .LBB8_124
; %bb.117:                              ;   in Loop: Header=BB8_53 Depth=1
	global_load_dwordx2 v[14:15], v27, s[6:7] offset:32 glc
	global_load_dwordx2 v[6:7], v27, s[6:7] offset:40
	v_mov_b32_e32 v12, s14
	v_mov_b32_e32 v13, s15
	s_waitcnt vmcnt(0)
	v_readfirstlane_b32 s18, v6
	v_readfirstlane_b32 s19, v7
	s_and_b64 s[18:19], s[18:19], s[14:15]
	s_mul_i32 s19, s19, 24
	s_mul_hi_u32 s20, s18, 24
	s_mul_i32 s18, s18, 24
	s_add_i32 s19, s20, s19
	v_mov_b32_e32 v6, s19
	v_add_co_u32_e32 v10, vcc, s18, v22
	v_addc_co_u32_e32 v11, vcc, v23, v6, vcc
	global_store_dwordx2 v[10:11], v[14:15], off
	buffer_wbl2
	s_waitcnt vmcnt(0)
	global_atomic_cmpswap_x2 v[8:9], v27, v[12:15], s[6:7] offset:32 glc
	s_waitcnt vmcnt(0)
	v_cmp_ne_u64_e32 vcc, v[8:9], v[14:15]
	s_and_saveexec_b64 s[18:19], vcc
	s_cbranch_execz .LBB8_120
; %bb.118:                              ;   in Loop: Header=BB8_53 Depth=1
	s_mov_b64 s[20:21], 0
.LBB8_119:                              ;   Parent Loop BB8_53 Depth=1
                                        ; =>  This Inner Loop Header: Depth=2
	s_sleep 1
	global_store_dwordx2 v[10:11], v[8:9], off
	v_mov_b32_e32 v6, s14
	v_mov_b32_e32 v7, s15
	buffer_wbl2
	s_waitcnt vmcnt(0)
	global_atomic_cmpswap_x2 v[6:7], v27, v[6:9], s[6:7] offset:32 glc
	s_waitcnt vmcnt(0)
	v_cmp_eq_u64_e32 vcc, v[6:7], v[8:9]
	s_or_b64 s[20:21], vcc, s[20:21]
	v_pk_mov_b32 v[8:9], v[6:7], v[6:7] op_sel:[0,1]
	s_andn2_b64 exec, exec, s[20:21]
	s_cbranch_execnz .LBB8_119
.LBB8_120:                              ;   in Loop: Header=BB8_53 Depth=1
	s_or_b64 exec, exec, s[18:19]
	global_load_dwordx2 v[6:7], v27, s[6:7] offset:16
	s_mov_b64 s[20:21], exec
	v_mbcnt_lo_u32_b32 v8, s20, 0
	v_mbcnt_hi_u32_b32 v8, s21, v8
	v_cmp_eq_u32_e32 vcc, 0, v8
	s_and_saveexec_b64 s[18:19], vcc
	s_cbranch_execz .LBB8_122
; %bb.121:                              ;   in Loop: Header=BB8_53 Depth=1
	s_bcnt1_i32_b64 s20, s[20:21]
	v_mov_b32_e32 v26, s20
	buffer_wbl2
	s_waitcnt vmcnt(0)
	global_atomic_add_x2 v[6:7], v[26:27], off offset:8
.LBB8_122:                              ;   in Loop: Header=BB8_53 Depth=1
	s_or_b64 exec, exec, s[18:19]
	s_waitcnt vmcnt(0)
	global_load_dwordx2 v[8:9], v[6:7], off offset:16
	s_waitcnt vmcnt(0)
	v_cmp_eq_u64_e32 vcc, 0, v[8:9]
	s_cbranch_vccnz .LBB8_124
; %bb.123:                              ;   in Loop: Header=BB8_53 Depth=1
	global_load_dword v26, v[6:7], off offset:24
	s_waitcnt vmcnt(0)
	v_and_b32_e32 v6, 0xffffff, v26
	v_readfirstlane_b32 m0, v6
	buffer_wbl2
	global_store_dwordx2 v[8:9], v[26:27], off
	s_sendmsg sendmsg(MSG_INTERRUPT)
.LBB8_124:                              ;   in Loop: Header=BB8_53 Depth=1
	s_or_b64 exec, exec, s[16:17]
	v_add_co_u32_e32 v2, vcc, v2, v30
	v_addc_co_u32_e32 v3, vcc, 0, v3, vcc
	s_branch .LBB8_128
.LBB8_125:                              ;   in Loop: Header=BB8_128 Depth=2
	s_or_b64 exec, exec, s[16:17]
	v_readfirstlane_b32 s16, v6
	s_cmp_eq_u32 s16, 0
	s_cbranch_scc1 .LBB8_127
; %bb.126:                              ;   in Loop: Header=BB8_128 Depth=2
	s_sleep 1
	s_cbranch_execnz .LBB8_128
	s_branch .LBB8_130
.LBB8_127:                              ;   in Loop: Header=BB8_53 Depth=1
	s_branch .LBB8_130
.LBB8_128:                              ;   Parent Loop BB8_53 Depth=1
                                        ; =>  This Inner Loop Header: Depth=2
	v_mov_b32_e32 v6, 1
	s_and_saveexec_b64 s[16:17], s[4:5]
	s_cbranch_execz .LBB8_125
; %bb.129:                              ;   in Loop: Header=BB8_128 Depth=2
	global_load_dword v6, v[28:29], off offset:20 glc
	s_waitcnt vmcnt(0)
	buffer_invl2
	buffer_wbinvl1_vol
	v_and_b32_e32 v6, 1, v6
	s_branch .LBB8_125
.LBB8_130:                              ;   in Loop: Header=BB8_53 Depth=1
	global_load_dwordx4 v[6:9], v[2:3], off
	s_and_saveexec_b64 s[16:17], s[4:5]
	s_cbranch_execz .LBB8_52
; %bb.131:                              ;   in Loop: Header=BB8_53 Depth=1
	global_load_dwordx2 v[2:3], v27, s[6:7] offset:40
	global_load_dwordx2 v[12:13], v27, s[6:7] offset:24 glc
	global_load_dwordx2 v[14:15], v27, s[6:7]
	s_waitcnt vmcnt(3)
	v_mov_b32_e32 v9, s15
	s_waitcnt vmcnt(2)
	v_add_co_u32_e32 v11, vcc, 1, v2
	v_addc_co_u32_e32 v16, vcc, 0, v3, vcc
	v_add_co_u32_e32 v8, vcc, s14, v11
	v_addc_co_u32_e32 v9, vcc, v16, v9, vcc
	v_cmp_eq_u64_e32 vcc, 0, v[8:9]
	v_cndmask_b32_e32 v9, v9, v16, vcc
	v_cndmask_b32_e32 v8, v8, v11, vcc
	v_and_b32_e32 v3, v9, v3
	v_and_b32_e32 v2, v8, v2
	v_mul_lo_u32 v3, v3, 24
	v_mul_hi_u32 v11, v2, 24
	v_mul_lo_u32 v2, v2, 24
	v_add_u32_e32 v3, v11, v3
	s_waitcnt vmcnt(0)
	v_add_co_u32_e32 v2, vcc, v14, v2
	v_addc_co_u32_e32 v3, vcc, v15, v3, vcc
	v_mov_b32_e32 v10, v12
	global_store_dwordx2 v[2:3], v[12:13], off
	v_mov_b32_e32 v11, v13
	buffer_wbl2
	s_waitcnt vmcnt(0)
	global_atomic_cmpswap_x2 v[10:11], v27, v[8:11], s[6:7] offset:24 glc
	s_waitcnt vmcnt(0)
	v_cmp_ne_u64_e32 vcc, v[10:11], v[12:13]
	s_and_b64 exec, exec, vcc
	s_cbranch_execz .LBB8_52
; %bb.132:                              ;   in Loop: Header=BB8_53 Depth=1
	s_mov_b64 s[4:5], 0
.LBB8_133:                              ;   Parent Loop BB8_53 Depth=1
                                        ; =>  This Inner Loop Header: Depth=2
	s_sleep 1
	global_store_dwordx2 v[2:3], v[10:11], off
	buffer_wbl2
	s_waitcnt vmcnt(0)
	global_atomic_cmpswap_x2 v[12:13], v27, v[8:11], s[6:7] offset:24 glc
	s_waitcnt vmcnt(0)
	v_cmp_eq_u64_e32 vcc, v[12:13], v[10:11]
	s_or_b64 s[4:5], vcc, s[4:5]
	v_pk_mov_b32 v[10:11], v[12:13], v[12:13] op_sel:[0,1]
	s_andn2_b64 exec, exec, s[4:5]
	s_cbranch_execnz .LBB8_133
	s_branch .LBB8_52
.LBB8_134:
	s_mov_b64 s[4:5], 0
	s_branch .LBB8_136
.LBB8_135:
	s_mov_b64 s[4:5], -1
.LBB8_136:
	s_and_b64 vcc, exec, s[4:5]
	s_cbranch_vccz .LBB8_163
; %bb.137:
	v_readfirstlane_b32 s4, v31
	v_cmp_eq_u32_e64 s[4:5], s4, v31
	s_waitcnt vmcnt(0)
	v_pk_mov_b32 v[8:9], 0, 0
	s_and_saveexec_b64 s[8:9], s[4:5]
	s_cbranch_execz .LBB8_143
; %bb.138:
	v_mov_b32_e32 v2, 0
	global_load_dwordx2 v[6:7], v2, s[6:7] offset:24 glc
	s_waitcnt vmcnt(0)
	buffer_invl2
	buffer_wbinvl1_vol
	global_load_dwordx2 v[4:5], v2, s[6:7] offset:40
	global_load_dwordx2 v[8:9], v2, s[6:7]
	s_waitcnt vmcnt(1)
	v_and_b32_e32 v3, v4, v6
	v_and_b32_e32 v4, v5, v7
	v_mul_lo_u32 v4, v4, 24
	v_mul_hi_u32 v5, v3, 24
	v_mul_lo_u32 v3, v3, 24
	v_add_u32_e32 v5, v5, v4
	s_waitcnt vmcnt(0)
	v_add_co_u32_e32 v4, vcc, v8, v3
	v_addc_co_u32_e32 v5, vcc, v9, v5, vcc
	global_load_dwordx2 v[4:5], v[4:5], off glc
	s_waitcnt vmcnt(0)
	global_atomic_cmpswap_x2 v[8:9], v2, v[4:7], s[6:7] offset:24 glc
	s_waitcnt vmcnt(0)
	buffer_invl2
	buffer_wbinvl1_vol
	v_cmp_ne_u64_e32 vcc, v[8:9], v[6:7]
	s_and_saveexec_b64 s[10:11], vcc
	s_cbranch_execz .LBB8_142
; %bb.139:
	s_mov_b64 s[12:13], 0
.LBB8_140:                              ; =>This Inner Loop Header: Depth=1
	s_sleep 1
	global_load_dwordx2 v[4:5], v2, s[6:7] offset:40
	global_load_dwordx2 v[10:11], v2, s[6:7]
	v_pk_mov_b32 v[6:7], v[8:9], v[8:9] op_sel:[0,1]
	s_waitcnt vmcnt(1)
	v_and_b32_e32 v4, v4, v6
	v_and_b32_e32 v3, v5, v7
	s_waitcnt vmcnt(0)
	v_mad_u64_u32 v[4:5], s[14:15], v4, 24, v[10:11]
	v_mov_b32_e32 v8, v5
	v_mad_u64_u32 v[8:9], s[14:15], v3, 24, v[8:9]
	v_mov_b32_e32 v5, v8
	global_load_dwordx2 v[4:5], v[4:5], off glc
	s_waitcnt vmcnt(0)
	global_atomic_cmpswap_x2 v[8:9], v2, v[4:7], s[6:7] offset:24 glc
	s_waitcnt vmcnt(0)
	buffer_invl2
	buffer_wbinvl1_vol
	v_cmp_eq_u64_e32 vcc, v[8:9], v[6:7]
	s_or_b64 s[12:13], vcc, s[12:13]
	s_andn2_b64 exec, exec, s[12:13]
	s_cbranch_execnz .LBB8_140
; %bb.141:
	s_or_b64 exec, exec, s[12:13]
.LBB8_142:
	s_or_b64 exec, exec, s[10:11]
.LBB8_143:
	s_or_b64 exec, exec, s[8:9]
	v_mov_b32_e32 v2, 0
	global_load_dwordx2 v[10:11], v2, s[6:7] offset:40
	global_load_dwordx4 v[4:7], v2, s[6:7]
	v_readfirstlane_b32 s8, v8
	v_readfirstlane_b32 s9, v9
	s_mov_b64 s[10:11], exec
	s_waitcnt vmcnt(1)
	v_readfirstlane_b32 s12, v10
	v_readfirstlane_b32 s13, v11
	s_and_b64 s[12:13], s[8:9], s[12:13]
	s_mul_i32 s14, s13, 24
	s_mul_hi_u32 s15, s12, 24
	s_mul_i32 s16, s12, 24
	s_add_i32 s14, s15, s14
	v_mov_b32_e32 v3, s14
	s_waitcnt vmcnt(0)
	v_add_co_u32_e32 v8, vcc, s16, v4
	v_addc_co_u32_e32 v9, vcc, v5, v3, vcc
	s_and_saveexec_b64 s[14:15], s[4:5]
	s_cbranch_execz .LBB8_145
; %bb.144:
	v_pk_mov_b32 v[10:11], s[10:11], s[10:11] op_sel:[0,1]
	v_mov_b32_e32 v12, 2
	v_mov_b32_e32 v13, 1
	global_store_dwordx4 v[8:9], v[10:13], off offset:8
.LBB8_145:
	s_or_b64 exec, exec, s[14:15]
	s_lshl_b64 s[10:11], s[12:13], 12
	v_mov_b32_e32 v3, s11
	v_add_co_u32_e32 v6, vcc, s10, v6
	v_addc_co_u32_e32 v7, vcc, v7, v3, vcc
	s_movk_i32 s10, 0xff1d
	s_mov_b32 s12, 0
	v_and_or_b32 v0, v0, s10, 34
	v_mov_b32_e32 v3, v2
	v_readfirstlane_b32 s10, v6
	v_readfirstlane_b32 s11, v7
	s_mov_b32 s13, s12
	s_mov_b32 s14, s12
	;; [unrolled: 1-line block ×3, first 2 shown]
	s_nop 1
	global_store_dwordx4 v30, v[0:3], s[10:11]
	s_nop 0
	v_pk_mov_b32 v[0:1], s[12:13], s[12:13] op_sel:[0,1]
	v_pk_mov_b32 v[2:3], s[14:15], s[14:15] op_sel:[0,1]
	global_store_dwordx4 v30, v[0:3], s[10:11] offset:16
	global_store_dwordx4 v30, v[0:3], s[10:11] offset:32
	;; [unrolled: 1-line block ×3, first 2 shown]
	s_and_saveexec_b64 s[10:11], s[4:5]
	s_cbranch_execz .LBB8_153
; %bb.146:
	v_mov_b32_e32 v6, 0
	global_load_dwordx2 v[12:13], v6, s[6:7] offset:32 glc
	global_load_dwordx2 v[0:1], v6, s[6:7] offset:40
	v_mov_b32_e32 v10, s8
	v_mov_b32_e32 v11, s9
	s_waitcnt vmcnt(0)
	v_readfirstlane_b32 s12, v0
	v_readfirstlane_b32 s13, v1
	s_and_b64 s[12:13], s[12:13], s[8:9]
	s_mul_i32 s13, s13, 24
	s_mul_hi_u32 s14, s12, 24
	s_mul_i32 s12, s12, 24
	s_add_i32 s13, s14, s13
	v_mov_b32_e32 v0, s13
	v_add_co_u32_e32 v4, vcc, s12, v4
	v_addc_co_u32_e32 v5, vcc, v5, v0, vcc
	global_store_dwordx2 v[4:5], v[12:13], off
	buffer_wbl2
	s_waitcnt vmcnt(0)
	global_atomic_cmpswap_x2 v[2:3], v6, v[10:13], s[6:7] offset:32 glc
	s_waitcnt vmcnt(0)
	v_cmp_ne_u64_e32 vcc, v[2:3], v[12:13]
	s_and_saveexec_b64 s[12:13], vcc
	s_cbranch_execz .LBB8_149
; %bb.147:
	s_mov_b64 s[14:15], 0
.LBB8_148:                              ; =>This Inner Loop Header: Depth=1
	s_sleep 1
	global_store_dwordx2 v[4:5], v[2:3], off
	v_mov_b32_e32 v0, s8
	v_mov_b32_e32 v1, s9
	buffer_wbl2
	s_waitcnt vmcnt(0)
	global_atomic_cmpswap_x2 v[0:1], v6, v[0:3], s[6:7] offset:32 glc
	s_waitcnt vmcnt(0)
	v_cmp_eq_u64_e32 vcc, v[0:1], v[2:3]
	s_or_b64 s[14:15], vcc, s[14:15]
	v_pk_mov_b32 v[2:3], v[0:1], v[0:1] op_sel:[0,1]
	s_andn2_b64 exec, exec, s[14:15]
	s_cbranch_execnz .LBB8_148
.LBB8_149:
	s_or_b64 exec, exec, s[12:13]
	v_mov_b32_e32 v3, 0
	global_load_dwordx2 v[0:1], v3, s[6:7] offset:16
	s_mov_b64 s[12:13], exec
	v_mbcnt_lo_u32_b32 v2, s12, 0
	v_mbcnt_hi_u32_b32 v2, s13, v2
	v_cmp_eq_u32_e32 vcc, 0, v2
	s_and_saveexec_b64 s[14:15], vcc
	s_cbranch_execz .LBB8_151
; %bb.150:
	s_bcnt1_i32_b64 s12, s[12:13]
	v_mov_b32_e32 v2, s12
	buffer_wbl2
	s_waitcnt vmcnt(0)
	global_atomic_add_x2 v[0:1], v[2:3], off offset:8
.LBB8_151:
	s_or_b64 exec, exec, s[14:15]
	s_waitcnt vmcnt(0)
	global_load_dwordx2 v[2:3], v[0:1], off offset:16
	s_waitcnt vmcnt(0)
	v_cmp_eq_u64_e32 vcc, 0, v[2:3]
	s_cbranch_vccnz .LBB8_153
; %bb.152:
	global_load_dword v0, v[0:1], off offset:24
	v_mov_b32_e32 v1, 0
	buffer_wbl2
	s_waitcnt vmcnt(0)
	global_store_dwordx2 v[2:3], v[0:1], off
	v_and_b32_e32 v0, 0xffffff, v0
	v_readfirstlane_b32 m0, v0
	s_sendmsg sendmsg(MSG_INTERRUPT)
.LBB8_153:
	s_or_b64 exec, exec, s[10:11]
	s_branch .LBB8_157
.LBB8_154:                              ;   in Loop: Header=BB8_157 Depth=1
	s_or_b64 exec, exec, s[10:11]
	v_readfirstlane_b32 s10, v0
	s_cmp_eq_u32 s10, 0
	s_cbranch_scc1 .LBB8_156
; %bb.155:                              ;   in Loop: Header=BB8_157 Depth=1
	s_sleep 1
	s_cbranch_execnz .LBB8_157
	s_branch .LBB8_159
.LBB8_156:
	s_branch .LBB8_159
.LBB8_157:                              ; =>This Inner Loop Header: Depth=1
	v_mov_b32_e32 v0, 1
	s_and_saveexec_b64 s[10:11], s[4:5]
	s_cbranch_execz .LBB8_154
; %bb.158:                              ;   in Loop: Header=BB8_157 Depth=1
	global_load_dword v0, v[8:9], off offset:20 glc
	s_waitcnt vmcnt(0)
	buffer_invl2
	buffer_wbinvl1_vol
	v_and_b32_e32 v0, 1, v0
	s_branch .LBB8_154
.LBB8_159:
	s_and_saveexec_b64 s[10:11], s[4:5]
	s_cbranch_execz .LBB8_162
; %bb.160:
	v_mov_b32_e32 v6, 0
	global_load_dwordx2 v[4:5], v6, s[6:7] offset:40
	global_load_dwordx2 v[8:9], v6, s[6:7] offset:24 glc
	global_load_dwordx2 v[10:11], v6, s[6:7]
	v_mov_b32_e32 v1, s9
	s_mov_b64 s[4:5], 0
	s_waitcnt vmcnt(2)
	v_add_co_u32_e32 v3, vcc, 1, v4
	v_addc_co_u32_e32 v7, vcc, 0, v5, vcc
	v_add_co_u32_e32 v0, vcc, s8, v3
	v_addc_co_u32_e32 v1, vcc, v7, v1, vcc
	v_cmp_eq_u64_e32 vcc, 0, v[0:1]
	v_cndmask_b32_e32 v1, v1, v7, vcc
	v_cndmask_b32_e32 v0, v0, v3, vcc
	v_and_b32_e32 v3, v1, v5
	v_and_b32_e32 v4, v0, v4
	v_mul_lo_u32 v3, v3, 24
	v_mul_hi_u32 v5, v4, 24
	v_mul_lo_u32 v4, v4, 24
	v_add_u32_e32 v3, v5, v3
	s_waitcnt vmcnt(0)
	v_add_co_u32_e32 v4, vcc, v10, v4
	v_addc_co_u32_e32 v5, vcc, v11, v3, vcc
	v_mov_b32_e32 v2, v8
	global_store_dwordx2 v[4:5], v[8:9], off
	v_mov_b32_e32 v3, v9
	buffer_wbl2
	s_waitcnt vmcnt(0)
	global_atomic_cmpswap_x2 v[2:3], v6, v[0:3], s[6:7] offset:24 glc
	s_waitcnt vmcnt(0)
	v_cmp_ne_u64_e32 vcc, v[2:3], v[8:9]
	s_and_b64 exec, exec, vcc
	s_cbranch_execz .LBB8_162
.LBB8_161:                              ; =>This Inner Loop Header: Depth=1
	s_sleep 1
	global_store_dwordx2 v[4:5], v[2:3], off
	buffer_wbl2
	s_waitcnt vmcnt(0)
	global_atomic_cmpswap_x2 v[8:9], v6, v[0:3], s[6:7] offset:24 glc
	s_waitcnt vmcnt(0)
	v_cmp_eq_u64_e32 vcc, v[8:9], v[2:3]
	s_or_b64 s[4:5], vcc, s[4:5]
	v_pk_mov_b32 v[2:3], v[8:9], v[8:9] op_sel:[0,1]
	s_andn2_b64 exec, exec, s[4:5]
	s_cbranch_execnz .LBB8_161
.LBB8_162:
	s_or_b64 exec, exec, s[10:11]
.LBB8_163:
	s_add_u32 s8, s44, 0x58
	s_addc_u32 s9, s45, 0
	s_getpc_b64 s[4:5]
	s_add_u32 s4, s4, .str.29@rel32@lo+4
	s_addc_u32 s5, s5, .str.29@rel32@hi+12
	s_getpc_b64 s[6:7]
	s_add_u32 s6, s6, .str.19@rel32@lo+4
	s_addc_u32 s7, s7, .str.19@rel32@hi+12
	s_getpc_b64 s[10:11]
	s_add_u32 s10, s10, __PRETTY_FUNCTION__._ZN7VecsMemIjLi8192EE5fetchEi@rel32@lo+4
	s_addc_u32 s11, s11, __PRETTY_FUNCTION__._ZN7VecsMemIjLi8192EE5fetchEi@rel32@hi+12
	s_waitcnt vmcnt(0)
	v_mov_b32_e32 v0, s4
	v_mov_b32_e32 v1, s5
	;; [unrolled: 1-line block ×7, first 2 shown]
	s_getpc_b64 s[12:13]
	s_add_u32 s12, s12, __assert_fail@rel32@lo+4
	s_addc_u32 s13, s13, __assert_fail@rel32@hi+12
	s_swappc_b64 s[30:31], s[12:13]
	s_or_b64 s[4:5], s[94:95], exec
.LBB8_164:
	s_or_b64 exec, exec, s[38:39]
	s_andn2_b64 s[6:7], s[94:95], exec
	s_and_b64 s[4:5], s[4:5], exec
	s_or_b64 s[38:39], s[6:7], s[4:5]
	s_orn2_b64 s[4:5], s[36:37], exec
.LBB8_165:
	s_or_b64 exec, exec, s[34:35]
	s_mov_b64 s[6:7], 0
	s_and_saveexec_b64 s[34:35], s[4:5]
	s_cbranch_execz .LBB8_178
; %bb.166:
	s_mov_b64 s[40:41], 0
	v_cmp_ne_u64_e32 vcc, 0, v[44:45]
	s_mov_b64 s[42:43], s[38:39]
	s_and_saveexec_b64 s[4:5], vcc
	s_xor_b64 s[36:37], exec, s[4:5]
	s_cbranch_execz .LBB8_175
; %bb.167:
	v_cmp_lt_i32_e32 vcc, 0, v43
	s_and_saveexec_b64 s[4:5], vcc
	s_cbranch_execz .LBB8_172
; %bb.168:
	ds_read_b64 v[0:1], v42 offset:8
	v_pk_mov_b32 v[2:3], v[44:45], v[44:45] op_sel:[0,1]
	v_mov_b32_e32 v4, v43
.LBB8_169:                              ; =>This Inner Loop Header: Depth=1
	s_waitcnt lgkmcnt(0)
	flat_load_dword v5, v[0:1]
	v_add_co_u32_e32 v0, vcc, 4, v0
	v_add_u32_e32 v4, -1, v4
	v_addc_co_u32_e32 v1, vcc, 0, v1, vcc
	v_cmp_eq_u32_e32 vcc, 0, v4
	s_or_b64 s[6:7], vcc, s[6:7]
	s_waitcnt vmcnt(0) lgkmcnt(0)
	flat_store_dword v[2:3], v5
	v_add_co_u32_e32 v2, vcc, 4, v2
	v_addc_co_u32_e32 v3, vcc, 0, v3, vcc
	s_andn2_b64 exec, exec, s[6:7]
	s_cbranch_execnz .LBB8_169
; %bb.170:
	s_or_b64 exec, exec, s[6:7]
	v_mov_b32_e32 v0, 8
	v_add_u32_e32 v0, 4, v0
	s_mov_b64 s[6:7], 0
	v_mov_b32_e32 v1, v43
.LBB8_171:                              ; =>This Inner Loop Header: Depth=1
	flat_load_dword v2, v[44:45]
	v_add_co_u32_e32 v44, vcc, 4, v44
	v_add_u32_e32 v1, -1, v1
	v_addc_co_u32_e32 v45, vcc, 0, v45, vcc
	v_cmp_eq_u32_e32 vcc, 0, v1
	s_or_b64 s[6:7], vcc, s[6:7]
	s_waitcnt vmcnt(0) lgkmcnt(0)
	buffer_store_dword v2, v0, s[0:3], 0 offen
	v_add_u32_e32 v0, 4, v0
	s_andn2_b64 exec, exec, s[6:7]
	s_cbranch_execnz .LBB8_171
.LBB8_172:
	s_or_b64 exec, exec, s[4:5]
	buffer_load_dword v0, off, s[0:3], 0 offset:8
	s_mov_b64 s[4:5], -1
	s_mov_b64 s[6:7], s[38:39]
	s_waitcnt vmcnt(0)
	v_cmp_lt_i32_e32 vcc, v0, v43
	s_and_saveexec_b64 s[8:9], vcc
	s_xor_b64 s[40:41], exec, s[8:9]
	s_cbranch_execz .LBB8_174
; %bb.173:
	s_add_u32 s8, s44, 0x58
	s_addc_u32 s9, s45, 0
	s_getpc_b64 s[4:5]
	s_add_u32 s4, s4, .str.18@rel32@lo+4
	s_addc_u32 s5, s5, .str.18@rel32@hi+12
	s_getpc_b64 s[6:7]
	s_add_u32 s6, s6, .str.19@rel32@lo+4
	s_addc_u32 s7, s7, .str.19@rel32@hi+12
	s_getpc_b64 s[10:11]
	s_add_u32 s10, s10, __PRETTY_FUNCTION__._ZN7VecsMemIjLi8192EE6shrinkEi@rel32@lo+4
	s_addc_u32 s11, s11, __PRETTY_FUNCTION__._ZN7VecsMemIjLi8192EE6shrinkEi@rel32@hi+12
	v_mov_b32_e32 v0, s4
	v_mov_b32_e32 v1, s5
	;; [unrolled: 1-line block ×7, first 2 shown]
	s_getpc_b64 s[12:13]
	s_add_u32 s12, s12, __assert_fail@rel32@lo+4
	s_addc_u32 s13, s13, __assert_fail@rel32@hi+12
	s_swappc_b64 s[30:31], s[12:13]
	s_or_b64 s[6:7], s[38:39], exec
	s_xor_b64 s[4:5], exec, -1
.LBB8_174:
	s_or_b64 exec, exec, s[40:41]
	s_andn2_b64 s[8:9], s[38:39], exec
	s_and_b64 s[6:7], s[6:7], exec
	s_or_b64 s[42:43], s[8:9], s[6:7]
	s_and_b64 s[40:41], s[4:5], exec
.LBB8_175:
	s_andn2_saveexec_b64 s[36:37], s[36:37]
	s_cbranch_execz .LBB8_177
; %bb.176:
	s_add_u32 s8, s44, 0x58
	s_addc_u32 s9, s45, 0
	s_getpc_b64 s[4:5]
	s_add_u32 s4, s4, .str.17@rel32@lo+4
	s_addc_u32 s5, s5, .str.17@rel32@hi+12
	s_getpc_b64 s[6:7]
	s_add_u32 s6, s6, .str.16@rel32@lo+4
	s_addc_u32 s7, s7, .str.16@rel32@hi+12
	s_getpc_b64 s[10:11]
	s_add_u32 s10, s10, __PRETTY_FUNCTION__._ZN3sop10minatoIsopEPKjiP7VecsMemIjLi8192EE@rel32@lo+4
	s_addc_u32 s11, s11, __PRETTY_FUNCTION__._ZN3sop10minatoIsopEPKjiP7VecsMemIjLi8192EE@rel32@hi+12
	v_mov_b32_e32 v0, s4
	v_mov_b32_e32 v1, s5
	;; [unrolled: 1-line block ×7, first 2 shown]
	s_getpc_b64 s[12:13]
	s_add_u32 s12, s12, __assert_fail@rel32@lo+4
	s_addc_u32 s13, s13, __assert_fail@rel32@hi+12
	s_swappc_b64 s[30:31], s[12:13]
	s_or_b64 s[42:43], s[42:43], exec
.LBB8_177:
	s_or_b64 exec, exec, s[36:37]
	s_andn2_b64 s[4:5], s[38:39], exec
	s_and_b64 s[6:7], s[42:43], exec
	s_or_b64 s[38:39], s[4:5], s[6:7]
	s_and_b64 s[6:7], s[40:41], exec
.LBB8_178:
	s_or_b64 exec, exec, s[34:35]
	s_andn2_b64 s[4:5], s[94:95], exec
	s_and_b64 s[8:9], s[38:39], exec
	s_or_b64 s[68:69], s[4:5], s[8:9]
	s_and_b64 s[4:5], s[6:7], exec
	s_andn2_b64 s[26:27], s[26:27], exec
.LBB8_179:
	s_or_b64 exec, exec, s[28:29]
	s_and_saveexec_b64 s[6:7], s[26:27]
	s_cbranch_execz .LBB8_181
; %bb.180:
	buffer_load_dword v0, off, s[0:3], 0 offset:8
	s_andn2_b64 s[4:5], s[4:5], exec
	s_mov_b64 s[66:67], exec
	v_mov_b32_e32 v1, 0
	buffer_store_dword v1, off, s[0:3], 0 offset:12
	s_waitcnt vmcnt(1)
	v_cmp_ge_i32_e32 vcc, v0, v43
	s_and_b64 s[8:9], vcc, exec
	s_or_b64 s[4:5], s[4:5], s[8:9]
.LBB8_181:
	s_or_b64 exec, exec, s[6:7]
	s_mov_b64 s[6:7], 0
	s_mov_b64 s[8:9], 0
	;; [unrolled: 1-line block ×3, first 2 shown]
	s_and_saveexec_b64 s[70:71], s[4:5]
	s_cbranch_execz .LBB8_411
; %bb.182:
	v_cmp_lt_i32_e32 vcc, 15, v41
	s_mov_b64 s[72:73], s[68:69]
	buffer_store_dword v43, off, s[0:3], 0 offset:8
	s_barrier
	s_and_saveexec_b64 s[4:5], vcc
	s_xor_b64 s[26:27], exec, s[4:5]
	s_cbranch_execz .LBB8_184
; %bb.183:
	s_add_u32 s8, s44, 0x58
	s_addc_u32 s9, s45, 0
	s_getpc_b64 s[4:5]
	s_add_u32 s4, s4, .str.30@rel32@lo+4
	s_addc_u32 s5, s5, .str.30@rel32@hi+12
	s_getpc_b64 s[6:7]
	s_add_u32 s6, s6, .str.31@rel32@lo+4
	s_addc_u32 s7, s7, .str.31@rel32@hi+12
	s_getpc_b64 s[10:11]
	s_add_u32 s10, s10, __PRETTY_FUNCTION__._ZN3sop9sopFactorEPjiiPKiiP7VecsMemIjLi8192EEPN8subgUtil4SubgILi256EEE@rel32@lo+4
	s_addc_u32 s11, s11, __PRETTY_FUNCTION__._ZN3sop9sopFactorEPjiiPKiiP7VecsMemIjLi8192EEPN8subgUtil4SubgILi256EEE@rel32@hi+12
	v_mov_b32_e32 v0, s4
	v_mov_b32_e32 v1, s5
	;; [unrolled: 1-line block ×7, first 2 shown]
	s_getpc_b64 s[12:13]
	s_add_u32 s12, s12, __assert_fail@rel32@lo+4
	s_addc_u32 s13, s13, __assert_fail@rel32@hi+12
	s_swappc_b64 s[30:31], s[12:13]
	s_or_b64 s[72:73], s[68:69], exec
                                        ; implicit-def: $vgpr74_vgpr75
                                        ; implicit-def: $vgpr41
                                        ; implicit-def: $vgpr42
                                        ; implicit-def: $vgpr72
                                        ; implicit-def: $vgpr46
.LBB8_184:
	s_or_saveexec_b64 s[74:75], s[26:27]
	s_mov_b64 s[4:5], 0
	s_mov_b64 s[6:7], 0
	;; [unrolled: 1-line block ×3, first 2 shown]
	s_xor_b64 exec, exec, s[74:75]
	s_cbranch_execz .LBB8_410
; %bb.185:
	buffer_load_dword v43, off, s[0:3], 0 offset:8
	v_mov_b32_e32 v0, 0x8010
	s_mov_b64 s[48:49], 0
	s_mov_b64 s[96:97], 0
	buffer_store_dword v41, v0, s[0:3], 0 offen
	s_waitcnt vmcnt(1)
	v_cmp_lt_i32_e32 vcc, 0, v43
	s_and_saveexec_b64 s[6:7], vcc
	s_xor_b64 s[6:7], exec, s[6:7]
	s_cbranch_execnz .LBB8_189
; %bb.186:
	s_andn2_saveexec_b64 s[6:7], s[6:7]
	s_cbranch_execnz .LBB8_198
.LBB8_187:
	s_or_b64 exec, exec, s[6:7]
	s_mov_b64 s[26:27], s[72:73]
	s_and_saveexec_b64 s[52:53], s[4:5]
	s_cbranch_execnz .LBB8_199
.LBB8_188:
	s_or_b64 exec, exec, s[52:53]
	s_and_saveexec_b64 s[4:5], s[48:49]
	s_cbranch_execnz .LBB8_375
	s_branch .LBB8_380
.LBB8_189:
	v_cmp_eq_u32_e32 vcc, 1, v43
	s_mov_b64 s[4:5], -1
	s_mov_b64 s[10:11], 0
	s_and_saveexec_b64 s[8:9], vcc
	s_cbranch_execz .LBB8_197
; %bb.190:
	buffer_load_dword v0, off, s[0:3], 0 offset:12
	s_waitcnt vmcnt(0)
	v_cmp_ne_u32_e32 vcc, 0, v0
	v_cmp_eq_u32_e64 s[4:5], 0, v0
	s_and_saveexec_b64 s[12:13], s[4:5]
	s_xor_b64 s[4:5], exec, s[12:13]
	s_cbranch_execz .LBB8_196
; %bb.191:
	v_add_u32_e32 v0, 1, v41
	v_mov_b32_e32 v1, 0x8010
	buffer_store_dword v0, v1, s[0:3], 0 offen
	v_mov_b32_e32 v0, 0x8010
	v_lshl_add_u32 v0, v41, 3, v0
	s_mov_b64 s[10:11], exec
	v_readlane_b32 s12, v47, 2
	v_readlane_b32 s13, v47, 3
	s_and_b64 s[12:13], s[10:11], s[12:13]
	s_xor_b64 s[10:11], s[12:13], s[10:11]
	s_mov_b64 exec, s[12:13]
	s_cbranch_execz .LBB8_193
; %bb.192:
	v_mov_b32_e32 v1, 0
	buffer_store_dword v1, v0, s[0:3], 0 offen offset:12
	buffer_store_dword v1, v0, s[0:3], 0 offen offset:8
                                        ; implicit-def: $vgpr0
.LBB8_193:
	s_andn2_saveexec_b64 s[10:11], s[10:11]
	s_cbranch_execz .LBB8_195
; %bb.194:
	v_mov_b32_e32 v1, 1
	buffer_store_dword v1, v0, s[0:3], 0 offen offset:12
	v_mov_b32_e32 v1, 3
	buffer_store_dword v1, v0, s[0:3], 0 offen offset:8
.LBB8_195:
	s_or_b64 exec, exec, s[10:11]
	s_mov_b64 s[10:11], exec
.LBB8_196:
	s_or_b64 exec, exec, s[4:5]
	s_and_b64 s[10:11], s[10:11], exec
	s_orn2_b64 s[4:5], vcc, exec
.LBB8_197:
	s_or_b64 exec, exec, s[8:9]
	s_and_b64 s[96:97], s[10:11], exec
	s_and_b64 s[4:5], s[4:5], exec
	s_andn2_saveexec_b64 s[6:7], s[6:7]
	s_cbranch_execz .LBB8_187
.LBB8_198:
	v_cmp_ne_u32_e32 vcc, 0, v43
	s_andn2_b64 s[4:5], s[4:5], exec
	s_and_b64 s[8:9], vcc, exec
	s_mov_b64 s[48:49], exec
	s_or_b64 s[4:5], s[4:5], s[8:9]
	s_or_b64 exec, exec, s[6:7]
	s_mov_b64 s[26:27], s[72:73]
	s_and_saveexec_b64 s[52:53], s[4:5]
	s_cbranch_execz .LBB8_188
.LBB8_199:
	v_mov_b32_e32 v0, 0
	v_cmp_lt_i32_e32 vcc, 0, v43
	s_mov_b64 s[4:5], -1
	v_pk_mov_b32 v[44:45], 0, 0
	s_mov_b64 s[98:99], s[72:73]
	ds_write_b32 v42, v0 offset:16388
	s_and_saveexec_b64 s[26:27], vcc
	s_cbranch_execz .LBB8_350
; %bb.200:
	s_movk_i32 s4, 0x1001
	v_cmp_gt_u32_e32 vcc, s4, v43
	s_mov_b64 s[28:29], 0
	v_pk_mov_b32 v[44:45], 0, 0
	s_and_saveexec_b64 s[4:5], vcc
	s_xor_b64 s[4:5], exec, s[4:5]
	s_cbranch_execz .LBB8_202
; %bb.201:
	v_lshlrev_b32_e32 v0, 1, v43
	buffer_store_dword v0, off, s[0:3], 0 offset:8
	v_mov_b32_e32 v0, 8
	v_lshl_add_u32 v0, v43, 3, v0
	v_lshlrev_b32_e32 v1, 2, v43
	v_sub_u32_e32 v0, v0, v1
	s_mov_b64 s[6:7], src_private_base
	s_mov_b64 s[28:29], exec
	v_add_u32_e32 v44, 4, v0
	v_mov_b32_e32 v45, s7
.LBB8_202:
	s_or_saveexec_b64 s[34:35], s[4:5]
	s_mov_b64 s[4:5], s[72:73]
	s_xor_b64 exec, exec, s[34:35]
	s_cbranch_execz .LBB8_349
; %bb.203:
	v_readlane_b32 s4, v47, 0
	v_readlane_b32 s5, v47, 1
	s_load_dwordx2 s[6:7], s[4:5], 0x50
	v_mbcnt_lo_u32_b32 v0, -1, 0
	v_mbcnt_hi_u32_b32 v31, -1, v0
	v_readfirstlane_b32 s4, v31
	v_cmp_eq_u32_e64 s[4:5], s4, v31
	v_pk_mov_b32 v[6:7], 0, 0
	s_and_saveexec_b64 s[8:9], s[4:5]
	s_cbranch_execz .LBB8_209
; %bb.204:
	v_mov_b32_e32 v0, 0
	s_waitcnt lgkmcnt(0)
	global_load_dwordx2 v[4:5], v0, s[6:7] offset:24 glc
	s_waitcnt vmcnt(0)
	buffer_invl2
	buffer_wbinvl1_vol
	global_load_dwordx2 v[2:3], v0, s[6:7] offset:40
	global_load_dwordx2 v[6:7], v0, s[6:7]
	s_waitcnt vmcnt(1)
	v_and_b32_e32 v1, v2, v4
	v_and_b32_e32 v2, v3, v5
	v_mul_lo_u32 v2, v2, 24
	v_mul_hi_u32 v3, v1, 24
	v_mul_lo_u32 v1, v1, 24
	v_add_u32_e32 v3, v3, v2
	s_waitcnt vmcnt(0)
	v_add_co_u32_e32 v2, vcc, v6, v1
	v_addc_co_u32_e32 v3, vcc, v7, v3, vcc
	global_load_dwordx2 v[2:3], v[2:3], off glc
	s_waitcnt vmcnt(0)
	global_atomic_cmpswap_x2 v[6:7], v0, v[2:5], s[6:7] offset:24 glc
	s_waitcnt vmcnt(0)
	buffer_invl2
	buffer_wbinvl1_vol
	v_cmp_ne_u64_e32 vcc, v[6:7], v[4:5]
	s_and_saveexec_b64 s[10:11], vcc
	s_cbranch_execz .LBB8_208
; %bb.205:
	s_mov_b64 s[12:13], 0
.LBB8_206:                              ; =>This Inner Loop Header: Depth=1
	s_sleep 1
	global_load_dwordx2 v[2:3], v0, s[6:7] offset:40
	global_load_dwordx2 v[8:9], v0, s[6:7]
	v_pk_mov_b32 v[4:5], v[6:7], v[6:7] op_sel:[0,1]
	s_waitcnt vmcnt(1)
	v_and_b32_e32 v2, v2, v4
	v_and_b32_e32 v1, v3, v5
	s_waitcnt vmcnt(0)
	v_mad_u64_u32 v[2:3], s[14:15], v2, 24, v[8:9]
	v_mov_b32_e32 v6, v3
	v_mad_u64_u32 v[6:7], s[14:15], v1, 24, v[6:7]
	v_mov_b32_e32 v3, v6
	global_load_dwordx2 v[2:3], v[2:3], off glc
	s_waitcnt vmcnt(0)
	global_atomic_cmpswap_x2 v[6:7], v0, v[2:5], s[6:7] offset:24 glc
	s_waitcnt vmcnt(0)
	buffer_invl2
	buffer_wbinvl1_vol
	v_cmp_eq_u64_e32 vcc, v[6:7], v[4:5]
	s_or_b64 s[12:13], vcc, s[12:13]
	s_andn2_b64 exec, exec, s[12:13]
	s_cbranch_execnz .LBB8_206
; %bb.207:
	s_or_b64 exec, exec, s[12:13]
.LBB8_208:
	s_or_b64 exec, exec, s[10:11]
.LBB8_209:
	s_or_b64 exec, exec, s[8:9]
	v_mov_b32_e32 v5, 0
	s_waitcnt lgkmcnt(0)
	global_load_dwordx2 v[8:9], v5, s[6:7] offset:40
	global_load_dwordx4 v[0:3], v5, s[6:7]
	v_readfirstlane_b32 s8, v6
	v_readfirstlane_b32 s9, v7
	s_mov_b64 s[10:11], exec
	s_waitcnt vmcnt(1)
	v_readfirstlane_b32 s12, v8
	v_readfirstlane_b32 s13, v9
	s_and_b64 s[12:13], s[8:9], s[12:13]
	s_mul_i32 s14, s13, 24
	s_mul_hi_u32 s15, s12, 24
	s_mul_i32 s16, s12, 24
	s_add_i32 s14, s15, s14
	v_mov_b32_e32 v4, s14
	s_waitcnt vmcnt(0)
	v_add_co_u32_e32 v8, vcc, s16, v0
	v_addc_co_u32_e32 v9, vcc, v1, v4, vcc
	s_and_saveexec_b64 s[14:15], s[4:5]
	s_cbranch_execz .LBB8_211
; %bb.210:
	v_pk_mov_b32 v[10:11], s[10:11], s[10:11] op_sel:[0,1]
	v_mov_b32_e32 v12, 2
	v_mov_b32_e32 v13, 1
	global_store_dwordx4 v[8:9], v[10:13], off offset:8
.LBB8_211:
	s_or_b64 exec, exec, s[14:15]
	s_lshl_b64 s[10:11], s[12:13], 12
	v_mov_b32_e32 v4, s11
	v_add_co_u32_e32 v2, vcc, s10, v2
	v_addc_co_u32_e32 v3, vcc, v3, v4, vcc
	s_mov_b32 s12, 0
	v_lshlrev_b32_e32 v30, 6, v31
	v_add_co_u32_e32 v10, vcc, v2, v30
	v_mov_b32_e32 v4, 33
	v_mov_b32_e32 v6, v5
	;; [unrolled: 1-line block ×3, first 2 shown]
	v_readfirstlane_b32 s10, v2
	v_readfirstlane_b32 s11, v3
	s_mov_b32 s13, s12
	v_addc_co_u32_e32 v11, vcc, 0, v3, vcc
	s_mov_b32 s14, s12
	s_mov_b32 s15, s12
	s_nop 0
	global_store_dwordx4 v30, v[4:7], s[10:11]
	v_pk_mov_b32 v[2:3], s[12:13], s[12:13] op_sel:[0,1]
	v_pk_mov_b32 v[4:5], s[14:15], s[14:15] op_sel:[0,1]
	global_store_dwordx4 v30, v[2:5], s[10:11] offset:16
	global_store_dwordx4 v30, v[2:5], s[10:11] offset:32
	;; [unrolled: 1-line block ×3, first 2 shown]
	s_and_saveexec_b64 s[10:11], s[4:5]
	s_cbranch_execz .LBB8_219
; %bb.212:
	v_mov_b32_e32 v6, 0
	global_load_dwordx2 v[14:15], v6, s[6:7] offset:32 glc
	global_load_dwordx2 v[2:3], v6, s[6:7] offset:40
	v_mov_b32_e32 v12, s8
	v_mov_b32_e32 v13, s9
	s_waitcnt vmcnt(0)
	v_and_b32_e32 v2, s8, v2
	v_and_b32_e32 v3, s9, v3
	v_mul_lo_u32 v3, v3, 24
	v_mul_hi_u32 v4, v2, 24
	v_mul_lo_u32 v2, v2, 24
	v_add_u32_e32 v3, v4, v3
	v_add_co_u32_e32 v4, vcc, v0, v2
	v_addc_co_u32_e32 v5, vcc, v1, v3, vcc
	global_store_dwordx2 v[4:5], v[14:15], off
	buffer_wbl2
	s_waitcnt vmcnt(0)
	global_atomic_cmpswap_x2 v[2:3], v6, v[12:15], s[6:7] offset:32 glc
	s_waitcnt vmcnt(0)
	v_cmp_ne_u64_e32 vcc, v[2:3], v[14:15]
	s_and_saveexec_b64 s[12:13], vcc
	s_cbranch_execz .LBB8_215
; %bb.213:
	s_mov_b64 s[14:15], 0
.LBB8_214:                              ; =>This Inner Loop Header: Depth=1
	s_sleep 1
	global_store_dwordx2 v[4:5], v[2:3], off
	v_mov_b32_e32 v0, s8
	v_mov_b32_e32 v1, s9
	buffer_wbl2
	s_waitcnt vmcnt(0)
	global_atomic_cmpswap_x2 v[0:1], v6, v[0:3], s[6:7] offset:32 glc
	s_waitcnt vmcnt(0)
	v_cmp_eq_u64_e32 vcc, v[0:1], v[2:3]
	s_or_b64 s[14:15], vcc, s[14:15]
	v_pk_mov_b32 v[2:3], v[0:1], v[0:1] op_sel:[0,1]
	s_andn2_b64 exec, exec, s[14:15]
	s_cbranch_execnz .LBB8_214
.LBB8_215:
	s_or_b64 exec, exec, s[12:13]
	v_mov_b32_e32 v3, 0
	global_load_dwordx2 v[0:1], v3, s[6:7] offset:16
	s_mov_b64 s[12:13], exec
	v_mbcnt_lo_u32_b32 v2, s12, 0
	v_mbcnt_hi_u32_b32 v2, s13, v2
	v_cmp_eq_u32_e32 vcc, 0, v2
	s_and_saveexec_b64 s[14:15], vcc
	s_cbranch_execz .LBB8_217
; %bb.216:
	s_bcnt1_i32_b64 s12, s[12:13]
	v_mov_b32_e32 v2, s12
	buffer_wbl2
	s_waitcnt vmcnt(0)
	global_atomic_add_x2 v[0:1], v[2:3], off offset:8
.LBB8_217:
	s_or_b64 exec, exec, s[14:15]
	s_waitcnt vmcnt(0)
	global_load_dwordx2 v[2:3], v[0:1], off offset:16
	s_waitcnt vmcnt(0)
	v_cmp_eq_u64_e32 vcc, 0, v[2:3]
	s_cbranch_vccnz .LBB8_219
; %bb.218:
	global_load_dword v0, v[0:1], off offset:24
	v_mov_b32_e32 v1, 0
	buffer_wbl2
	s_waitcnt vmcnt(0)
	global_store_dwordx2 v[2:3], v[0:1], off
	v_and_b32_e32 v0, 0xffffff, v0
	v_readfirstlane_b32 m0, v0
	s_sendmsg sendmsg(MSG_INTERRUPT)
.LBB8_219:
	s_or_b64 exec, exec, s[10:11]
	s_branch .LBB8_223
.LBB8_220:                              ;   in Loop: Header=BB8_223 Depth=1
	s_or_b64 exec, exec, s[10:11]
	v_readfirstlane_b32 s10, v0
	s_cmp_eq_u32 s10, 0
	s_cbranch_scc1 .LBB8_222
; %bb.221:                              ;   in Loop: Header=BB8_223 Depth=1
	s_sleep 1
	s_cbranch_execnz .LBB8_223
	s_branch .LBB8_225
.LBB8_222:
	s_branch .LBB8_225
.LBB8_223:                              ; =>This Inner Loop Header: Depth=1
	v_mov_b32_e32 v0, 1
	s_and_saveexec_b64 s[10:11], s[4:5]
	s_cbranch_execz .LBB8_220
; %bb.224:                              ;   in Loop: Header=BB8_223 Depth=1
	global_load_dword v0, v[8:9], off offset:20 glc
	s_waitcnt vmcnt(0)
	buffer_invl2
	buffer_wbinvl1_vol
	v_and_b32_e32 v0, 1, v0
	s_branch .LBB8_220
.LBB8_225:
	global_load_dwordx2 v[0:1], v[10:11], off
	s_and_saveexec_b64 s[10:11], s[4:5]
	s_cbranch_execz .LBB8_228
; %bb.226:
	v_mov_b32_e32 v8, 0
	global_load_dwordx2 v[6:7], v8, s[6:7] offset:40
	global_load_dwordx2 v[10:11], v8, s[6:7] offset:24 glc
	global_load_dwordx2 v[12:13], v8, s[6:7]
	v_mov_b32_e32 v3, s9
	s_mov_b64 s[4:5], 0
	s_waitcnt vmcnt(2)
	v_add_co_u32_e32 v5, vcc, 1, v6
	v_addc_co_u32_e32 v9, vcc, 0, v7, vcc
	v_add_co_u32_e32 v2, vcc, s8, v5
	v_addc_co_u32_e32 v3, vcc, v9, v3, vcc
	v_cmp_eq_u64_e32 vcc, 0, v[2:3]
	v_cndmask_b32_e32 v3, v3, v9, vcc
	v_cndmask_b32_e32 v2, v2, v5, vcc
	v_and_b32_e32 v5, v3, v7
	v_and_b32_e32 v6, v2, v6
	v_mul_lo_u32 v5, v5, 24
	v_mul_hi_u32 v7, v6, 24
	v_mul_lo_u32 v6, v6, 24
	v_add_u32_e32 v5, v7, v5
	s_waitcnt vmcnt(0)
	v_add_co_u32_e32 v6, vcc, v12, v6
	v_addc_co_u32_e32 v7, vcc, v13, v5, vcc
	v_mov_b32_e32 v4, v10
	global_store_dwordx2 v[6:7], v[10:11], off
	v_mov_b32_e32 v5, v11
	buffer_wbl2
	s_waitcnt vmcnt(0)
	global_atomic_cmpswap_x2 v[4:5], v8, v[2:5], s[6:7] offset:24 glc
	s_waitcnt vmcnt(0)
	v_cmp_ne_u64_e32 vcc, v[4:5], v[10:11]
	s_and_b64 exec, exec, vcc
	s_cbranch_execz .LBB8_228
.LBB8_227:                              ; =>This Inner Loop Header: Depth=1
	s_sleep 1
	global_store_dwordx2 v[6:7], v[4:5], off
	buffer_wbl2
	s_waitcnt vmcnt(0)
	global_atomic_cmpswap_x2 v[10:11], v8, v[2:5], s[6:7] offset:24 glc
	s_waitcnt vmcnt(0)
	v_cmp_eq_u64_e32 vcc, v[10:11], v[4:5]
	s_or_b64 s[4:5], vcc, s[4:5]
	v_pk_mov_b32 v[4:5], v[10:11], v[10:11] op_sel:[0,1]
	s_andn2_b64 exec, exec, s[4:5]
	s_cbranch_execnz .LBB8_227
.LBB8_228:
	s_or_b64 exec, exec, s[10:11]
	s_getpc_b64 s[8:9]
	s_add_u32 s8, s8, .str.28@rel32@lo+4
	s_addc_u32 s9, s9, .str.28@rel32@hi+12
	s_cmp_lg_u64 s[8:9], 0
	s_cbranch_scc0 .LBB8_320
; %bb.229:
	s_waitcnt vmcnt(0)
	v_and_b32_e32 v6, -3, v0
	v_mov_b32_e32 v7, v1
	s_mov_b64 s[10:11], 35
	v_mov_b32_e32 v27, 0
	v_mov_b32_e32 v4, 2
	;; [unrolled: 1-line block ×3, first 2 shown]
	s_branch .LBB8_231
.LBB8_230:                              ;   in Loop: Header=BB8_231 Depth=1
	s_or_b64 exec, exec, s[16:17]
	s_sub_u32 s10, s10, s12
	s_subb_u32 s11, s11, s13
	s_add_u32 s8, s8, s12
	s_addc_u32 s9, s9, s13
	s_cmp_lg_u64 s[10:11], 0
	s_cbranch_scc0 .LBB8_319
.LBB8_231:                              ; =>This Loop Header: Depth=1
                                        ;     Child Loop BB8_234 Depth 2
                                        ;     Child Loop BB8_242 Depth 2
	;; [unrolled: 1-line block ×11, first 2 shown]
	v_cmp_lt_u64_e64 s[4:5], s[10:11], 56
	s_and_b64 s[4:5], s[4:5], exec
	v_cmp_gt_u64_e64 s[4:5], s[10:11], 7
	s_cselect_b32 s13, s11, 0
	s_cselect_b32 s12, s10, 56
	s_and_b64 vcc, exec, s[4:5]
	s_cbranch_vccnz .LBB8_236
; %bb.232:                              ;   in Loop: Header=BB8_231 Depth=1
	s_mov_b64 s[4:5], 0
	s_cmp_eq_u64 s[10:11], 0
	s_waitcnt vmcnt(0)
	v_pk_mov_b32 v[8:9], 0, 0
	s_cbranch_scc1 .LBB8_235
; %bb.233:                              ;   in Loop: Header=BB8_231 Depth=1
	s_lshl_b64 s[14:15], s[12:13], 3
	s_mov_b64 s[16:17], 0
	v_pk_mov_b32 v[8:9], 0, 0
	s_mov_b64 s[18:19], s[8:9]
.LBB8_234:                              ;   Parent Loop BB8_231 Depth=1
                                        ; =>  This Inner Loop Header: Depth=2
	global_load_ubyte v2, v27, s[18:19]
	s_waitcnt vmcnt(0)
	v_and_b32_e32 v26, 0xffff, v2
	v_lshlrev_b64 v[2:3], s16, v[26:27]
	s_add_u32 s16, s16, 8
	s_addc_u32 s17, s17, 0
	s_add_u32 s18, s18, 1
	s_addc_u32 s19, s19, 0
	v_or_b32_e32 v8, v2, v8
	s_cmp_lg_u32 s14, s16
	v_or_b32_e32 v9, v3, v9
	s_cbranch_scc1 .LBB8_234
.LBB8_235:                              ;   in Loop: Header=BB8_231 Depth=1
	s_mov_b32 s18, 0
	s_branch .LBB8_237
.LBB8_236:                              ;   in Loop: Header=BB8_231 Depth=1
	s_mov_b64 s[4:5], -1
                                        ; implicit-def: $sgpr18
.LBB8_237:                              ;   in Loop: Header=BB8_231 Depth=1
	s_andn2_b64 vcc, exec, s[4:5]
	s_mov_b64 s[4:5], s[8:9]
	s_cbranch_vccnz .LBB8_239
; %bb.238:                              ;   in Loop: Header=BB8_231 Depth=1
	global_load_dwordx2 v[8:9], v27, s[8:9]
	s_add_i32 s18, s12, -8
	s_add_u32 s4, s8, 8
	s_addc_u32 s5, s9, 0
.LBB8_239:                              ;   in Loop: Header=BB8_231 Depth=1
	s_cmp_gt_u32 s18, 7
	s_cbranch_scc1 .LBB8_243
; %bb.240:                              ;   in Loop: Header=BB8_231 Depth=1
	s_cmp_eq_u32 s18, 0
	s_cbranch_scc1 .LBB8_244
; %bb.241:                              ;   in Loop: Header=BB8_231 Depth=1
	s_mov_b64 s[14:15], 0
	v_pk_mov_b32 v[10:11], 0, 0
	s_mov_b64 s[16:17], 0
.LBB8_242:                              ;   Parent Loop BB8_231 Depth=1
                                        ; =>  This Inner Loop Header: Depth=2
	s_add_u32 s20, s4, s16
	s_addc_u32 s21, s5, s17
	global_load_ubyte v2, v27, s[20:21]
	s_add_u32 s16, s16, 1
	s_addc_u32 s17, s17, 0
	s_waitcnt vmcnt(0)
	v_and_b32_e32 v26, 0xffff, v2
	v_lshlrev_b64 v[2:3], s14, v[26:27]
	s_add_u32 s14, s14, 8
	s_addc_u32 s15, s15, 0
	v_or_b32_e32 v10, v2, v10
	s_cmp_lg_u32 s18, s16
	v_or_b32_e32 v11, v3, v11
	s_cbranch_scc1 .LBB8_242
	s_branch .LBB8_245
.LBB8_243:                              ;   in Loop: Header=BB8_231 Depth=1
	s_mov_b64 s[14:15], -1
                                        ; implicit-def: $vgpr10_vgpr11
                                        ; implicit-def: $sgpr19
	s_branch .LBB8_246
.LBB8_244:                              ;   in Loop: Header=BB8_231 Depth=1
	v_pk_mov_b32 v[10:11], 0, 0
.LBB8_245:                              ;   in Loop: Header=BB8_231 Depth=1
	s_mov_b64 s[14:15], 0
	s_mov_b32 s19, 0
.LBB8_246:                              ;   in Loop: Header=BB8_231 Depth=1
	s_andn2_b64 vcc, exec, s[14:15]
	s_cbranch_vccnz .LBB8_248
; %bb.247:                              ;   in Loop: Header=BB8_231 Depth=1
	global_load_dwordx2 v[10:11], v27, s[4:5]
	s_add_i32 s19, s18, -8
	s_add_u32 s4, s4, 8
	s_addc_u32 s5, s5, 0
.LBB8_248:                              ;   in Loop: Header=BB8_231 Depth=1
	s_cmp_gt_u32 s19, 7
	s_cbranch_scc1 .LBB8_252
; %bb.249:                              ;   in Loop: Header=BB8_231 Depth=1
	s_cmp_eq_u32 s19, 0
	s_cbranch_scc1 .LBB8_253
; %bb.250:                              ;   in Loop: Header=BB8_231 Depth=1
	s_mov_b64 s[14:15], 0
	v_pk_mov_b32 v[12:13], 0, 0
	s_mov_b64 s[16:17], 0
.LBB8_251:                              ;   Parent Loop BB8_231 Depth=1
                                        ; =>  This Inner Loop Header: Depth=2
	s_add_u32 s20, s4, s16
	s_addc_u32 s21, s5, s17
	global_load_ubyte v2, v27, s[20:21]
	s_add_u32 s16, s16, 1
	s_addc_u32 s17, s17, 0
	s_waitcnt vmcnt(0)
	v_and_b32_e32 v26, 0xffff, v2
	v_lshlrev_b64 v[2:3], s14, v[26:27]
	s_add_u32 s14, s14, 8
	s_addc_u32 s15, s15, 0
	v_or_b32_e32 v12, v2, v12
	s_cmp_lg_u32 s19, s16
	v_or_b32_e32 v13, v3, v13
	s_cbranch_scc1 .LBB8_251
	s_branch .LBB8_254
.LBB8_252:                              ;   in Loop: Header=BB8_231 Depth=1
	s_mov_b64 s[14:15], -1
                                        ; implicit-def: $sgpr18
	s_branch .LBB8_255
.LBB8_253:                              ;   in Loop: Header=BB8_231 Depth=1
	v_pk_mov_b32 v[12:13], 0, 0
.LBB8_254:                              ;   in Loop: Header=BB8_231 Depth=1
	s_mov_b64 s[14:15], 0
	s_mov_b32 s18, 0
.LBB8_255:                              ;   in Loop: Header=BB8_231 Depth=1
	s_andn2_b64 vcc, exec, s[14:15]
	s_cbranch_vccnz .LBB8_257
; %bb.256:                              ;   in Loop: Header=BB8_231 Depth=1
	global_load_dwordx2 v[12:13], v27, s[4:5]
	s_add_i32 s18, s19, -8
	s_add_u32 s4, s4, 8
	s_addc_u32 s5, s5, 0
.LBB8_257:                              ;   in Loop: Header=BB8_231 Depth=1
	s_cmp_gt_u32 s18, 7
	s_cbranch_scc1 .LBB8_261
; %bb.258:                              ;   in Loop: Header=BB8_231 Depth=1
	s_cmp_eq_u32 s18, 0
	s_cbranch_scc1 .LBB8_262
; %bb.259:                              ;   in Loop: Header=BB8_231 Depth=1
	s_mov_b64 s[14:15], 0
	v_pk_mov_b32 v[14:15], 0, 0
	s_mov_b64 s[16:17], 0
.LBB8_260:                              ;   Parent Loop BB8_231 Depth=1
                                        ; =>  This Inner Loop Header: Depth=2
	s_add_u32 s20, s4, s16
	s_addc_u32 s21, s5, s17
	global_load_ubyte v2, v27, s[20:21]
	s_add_u32 s16, s16, 1
	s_addc_u32 s17, s17, 0
	s_waitcnt vmcnt(0)
	v_and_b32_e32 v26, 0xffff, v2
	v_lshlrev_b64 v[2:3], s14, v[26:27]
	s_add_u32 s14, s14, 8
	s_addc_u32 s15, s15, 0
	v_or_b32_e32 v14, v2, v14
	s_cmp_lg_u32 s18, s16
	v_or_b32_e32 v15, v3, v15
	s_cbranch_scc1 .LBB8_260
	s_branch .LBB8_263
.LBB8_261:                              ;   in Loop: Header=BB8_231 Depth=1
	s_mov_b64 s[14:15], -1
                                        ; implicit-def: $vgpr14_vgpr15
                                        ; implicit-def: $sgpr19
	s_branch .LBB8_264
.LBB8_262:                              ;   in Loop: Header=BB8_231 Depth=1
	v_pk_mov_b32 v[14:15], 0, 0
.LBB8_263:                              ;   in Loop: Header=BB8_231 Depth=1
	s_mov_b64 s[14:15], 0
	s_mov_b32 s19, 0
.LBB8_264:                              ;   in Loop: Header=BB8_231 Depth=1
	s_andn2_b64 vcc, exec, s[14:15]
	s_cbranch_vccnz .LBB8_266
; %bb.265:                              ;   in Loop: Header=BB8_231 Depth=1
	global_load_dwordx2 v[14:15], v27, s[4:5]
	s_add_i32 s19, s18, -8
	s_add_u32 s4, s4, 8
	s_addc_u32 s5, s5, 0
.LBB8_266:                              ;   in Loop: Header=BB8_231 Depth=1
	s_cmp_gt_u32 s19, 7
	s_cbranch_scc1 .LBB8_270
; %bb.267:                              ;   in Loop: Header=BB8_231 Depth=1
	s_cmp_eq_u32 s19, 0
	s_cbranch_scc1 .LBB8_271
; %bb.268:                              ;   in Loop: Header=BB8_231 Depth=1
	s_mov_b64 s[14:15], 0
	v_pk_mov_b32 v[16:17], 0, 0
	s_mov_b64 s[16:17], 0
.LBB8_269:                              ;   Parent Loop BB8_231 Depth=1
                                        ; =>  This Inner Loop Header: Depth=2
	s_add_u32 s20, s4, s16
	s_addc_u32 s21, s5, s17
	global_load_ubyte v2, v27, s[20:21]
	s_add_u32 s16, s16, 1
	s_addc_u32 s17, s17, 0
	s_waitcnt vmcnt(0)
	v_and_b32_e32 v26, 0xffff, v2
	v_lshlrev_b64 v[2:3], s14, v[26:27]
	s_add_u32 s14, s14, 8
	s_addc_u32 s15, s15, 0
	v_or_b32_e32 v16, v2, v16
	s_cmp_lg_u32 s19, s16
	v_or_b32_e32 v17, v3, v17
	s_cbranch_scc1 .LBB8_269
	s_branch .LBB8_272
.LBB8_270:                              ;   in Loop: Header=BB8_231 Depth=1
	s_mov_b64 s[14:15], -1
                                        ; implicit-def: $sgpr18
	s_branch .LBB8_273
.LBB8_271:                              ;   in Loop: Header=BB8_231 Depth=1
	v_pk_mov_b32 v[16:17], 0, 0
.LBB8_272:                              ;   in Loop: Header=BB8_231 Depth=1
	s_mov_b64 s[14:15], 0
	s_mov_b32 s18, 0
.LBB8_273:                              ;   in Loop: Header=BB8_231 Depth=1
	s_andn2_b64 vcc, exec, s[14:15]
	s_cbranch_vccnz .LBB8_275
; %bb.274:                              ;   in Loop: Header=BB8_231 Depth=1
	global_load_dwordx2 v[16:17], v27, s[4:5]
	s_add_i32 s18, s19, -8
	s_add_u32 s4, s4, 8
	s_addc_u32 s5, s5, 0
.LBB8_275:                              ;   in Loop: Header=BB8_231 Depth=1
	s_cmp_gt_u32 s18, 7
	s_cbranch_scc1 .LBB8_279
; %bb.276:                              ;   in Loop: Header=BB8_231 Depth=1
	s_cmp_eq_u32 s18, 0
	s_cbranch_scc1 .LBB8_280
; %bb.277:                              ;   in Loop: Header=BB8_231 Depth=1
	s_mov_b64 s[14:15], 0
	v_pk_mov_b32 v[18:19], 0, 0
	s_mov_b64 s[16:17], 0
.LBB8_278:                              ;   Parent Loop BB8_231 Depth=1
                                        ; =>  This Inner Loop Header: Depth=2
	s_add_u32 s20, s4, s16
	s_addc_u32 s21, s5, s17
	global_load_ubyte v2, v27, s[20:21]
	s_add_u32 s16, s16, 1
	s_addc_u32 s17, s17, 0
	s_waitcnt vmcnt(0)
	v_and_b32_e32 v26, 0xffff, v2
	v_lshlrev_b64 v[2:3], s14, v[26:27]
	s_add_u32 s14, s14, 8
	s_addc_u32 s15, s15, 0
	v_or_b32_e32 v18, v2, v18
	s_cmp_lg_u32 s18, s16
	v_or_b32_e32 v19, v3, v19
	s_cbranch_scc1 .LBB8_278
	s_branch .LBB8_281
.LBB8_279:                              ;   in Loop: Header=BB8_231 Depth=1
	s_mov_b64 s[14:15], -1
                                        ; implicit-def: $vgpr18_vgpr19
                                        ; implicit-def: $sgpr19
	s_branch .LBB8_282
.LBB8_280:                              ;   in Loop: Header=BB8_231 Depth=1
	v_pk_mov_b32 v[18:19], 0, 0
.LBB8_281:                              ;   in Loop: Header=BB8_231 Depth=1
	s_mov_b64 s[14:15], 0
	s_mov_b32 s19, 0
.LBB8_282:                              ;   in Loop: Header=BB8_231 Depth=1
	s_andn2_b64 vcc, exec, s[14:15]
	s_cbranch_vccnz .LBB8_284
; %bb.283:                              ;   in Loop: Header=BB8_231 Depth=1
	global_load_dwordx2 v[18:19], v27, s[4:5]
	s_add_i32 s19, s18, -8
	s_add_u32 s4, s4, 8
	s_addc_u32 s5, s5, 0
.LBB8_284:                              ;   in Loop: Header=BB8_231 Depth=1
	s_cmp_gt_u32 s19, 7
	s_cbranch_scc1 .LBB8_288
; %bb.285:                              ;   in Loop: Header=BB8_231 Depth=1
	s_cmp_eq_u32 s19, 0
	s_cbranch_scc1 .LBB8_289
; %bb.286:                              ;   in Loop: Header=BB8_231 Depth=1
	s_mov_b64 s[14:15], 0
	v_pk_mov_b32 v[20:21], 0, 0
	s_mov_b64 s[16:17], s[4:5]
.LBB8_287:                              ;   Parent Loop BB8_231 Depth=1
                                        ; =>  This Inner Loop Header: Depth=2
	global_load_ubyte v2, v27, s[16:17]
	s_add_i32 s19, s19, -1
	s_waitcnt vmcnt(0)
	v_and_b32_e32 v26, 0xffff, v2
	v_lshlrev_b64 v[2:3], s14, v[26:27]
	s_add_u32 s14, s14, 8
	s_addc_u32 s15, s15, 0
	s_add_u32 s16, s16, 1
	s_addc_u32 s17, s17, 0
	v_or_b32_e32 v20, v2, v20
	s_cmp_lg_u32 s19, 0
	v_or_b32_e32 v21, v3, v21
	s_cbranch_scc1 .LBB8_287
	s_branch .LBB8_290
.LBB8_288:                              ;   in Loop: Header=BB8_231 Depth=1
	s_mov_b64 s[14:15], -1
	s_branch .LBB8_291
.LBB8_289:                              ;   in Loop: Header=BB8_231 Depth=1
	v_pk_mov_b32 v[20:21], 0, 0
.LBB8_290:                              ;   in Loop: Header=BB8_231 Depth=1
	s_mov_b64 s[14:15], 0
.LBB8_291:                              ;   in Loop: Header=BB8_231 Depth=1
	s_andn2_b64 vcc, exec, s[14:15]
	s_cbranch_vccnz .LBB8_293
; %bb.292:                              ;   in Loop: Header=BB8_231 Depth=1
	global_load_dwordx2 v[20:21], v27, s[4:5]
.LBB8_293:                              ;   in Loop: Header=BB8_231 Depth=1
	v_readfirstlane_b32 s4, v31
	v_cmp_eq_u32_e64 s[4:5], s4, v31
	v_pk_mov_b32 v[2:3], 0, 0
	s_and_saveexec_b64 s[14:15], s[4:5]
	s_cbranch_execz .LBB8_299
; %bb.294:                              ;   in Loop: Header=BB8_231 Depth=1
	global_load_dwordx2 v[24:25], v27, s[6:7] offset:24 glc
	s_waitcnt vmcnt(0)
	buffer_invl2
	buffer_wbinvl1_vol
	global_load_dwordx2 v[2:3], v27, s[6:7] offset:40
	global_load_dwordx2 v[22:23], v27, s[6:7]
	s_waitcnt vmcnt(1)
	v_and_b32_e32 v2, v2, v24
	v_and_b32_e32 v3, v3, v25
	v_mul_lo_u32 v3, v3, 24
	v_mul_hi_u32 v26, v2, 24
	v_mul_lo_u32 v2, v2, 24
	v_add_u32_e32 v3, v26, v3
	s_waitcnt vmcnt(0)
	v_add_co_u32_e32 v2, vcc, v22, v2
	v_addc_co_u32_e32 v3, vcc, v23, v3, vcc
	global_load_dwordx2 v[22:23], v[2:3], off glc
	s_waitcnt vmcnt(0)
	global_atomic_cmpswap_x2 v[2:3], v27, v[22:25], s[6:7] offset:24 glc
	s_waitcnt vmcnt(0)
	buffer_invl2
	buffer_wbinvl1_vol
	v_cmp_ne_u64_e32 vcc, v[2:3], v[24:25]
	s_and_saveexec_b64 s[16:17], vcc
	s_cbranch_execz .LBB8_298
; %bb.295:                              ;   in Loop: Header=BB8_231 Depth=1
	s_mov_b64 s[18:19], 0
.LBB8_296:                              ;   Parent Loop BB8_231 Depth=1
                                        ; =>  This Inner Loop Header: Depth=2
	s_sleep 1
	global_load_dwordx2 v[22:23], v27, s[6:7] offset:40
	global_load_dwordx2 v[28:29], v27, s[6:7]
	v_pk_mov_b32 v[24:25], v[2:3], v[2:3] op_sel:[0,1]
	s_waitcnt vmcnt(1)
	v_and_b32_e32 v2, v22, v24
	s_waitcnt vmcnt(0)
	v_mad_u64_u32 v[2:3], s[20:21], v2, 24, v[28:29]
	v_and_b32_e32 v23, v23, v25
	v_mov_b32_e32 v22, v3
	v_mad_u64_u32 v[22:23], s[20:21], v23, 24, v[22:23]
	v_mov_b32_e32 v3, v22
	global_load_dwordx2 v[22:23], v[2:3], off glc
	s_waitcnt vmcnt(0)
	global_atomic_cmpswap_x2 v[2:3], v27, v[22:25], s[6:7] offset:24 glc
	s_waitcnt vmcnt(0)
	buffer_invl2
	buffer_wbinvl1_vol
	v_cmp_eq_u64_e32 vcc, v[2:3], v[24:25]
	s_or_b64 s[18:19], vcc, s[18:19]
	s_andn2_b64 exec, exec, s[18:19]
	s_cbranch_execnz .LBB8_296
; %bb.297:                              ;   in Loop: Header=BB8_231 Depth=1
	s_or_b64 exec, exec, s[18:19]
.LBB8_298:                              ;   in Loop: Header=BB8_231 Depth=1
	s_or_b64 exec, exec, s[16:17]
.LBB8_299:                              ;   in Loop: Header=BB8_231 Depth=1
	s_or_b64 exec, exec, s[14:15]
	global_load_dwordx2 v[28:29], v27, s[6:7] offset:40
	global_load_dwordx4 v[22:25], v27, s[6:7]
	v_readfirstlane_b32 s14, v2
	v_readfirstlane_b32 s15, v3
	s_mov_b64 s[16:17], exec
	s_waitcnt vmcnt(1)
	v_readfirstlane_b32 s18, v28
	v_readfirstlane_b32 s19, v29
	s_and_b64 s[18:19], s[14:15], s[18:19]
	s_mul_i32 s20, s19, 24
	s_mul_hi_u32 s21, s18, 24
	s_mul_i32 s22, s18, 24
	s_add_i32 s20, s21, s20
	v_mov_b32_e32 v2, s20
	s_waitcnt vmcnt(0)
	v_add_co_u32_e32 v28, vcc, s22, v22
	v_addc_co_u32_e32 v29, vcc, v23, v2, vcc
	s_and_saveexec_b64 s[20:21], s[4:5]
	s_cbranch_execz .LBB8_301
; %bb.300:                              ;   in Loop: Header=BB8_231 Depth=1
	v_pk_mov_b32 v[2:3], s[16:17], s[16:17] op_sel:[0,1]
	global_store_dwordx4 v[28:29], v[2:5], off offset:8
.LBB8_301:                              ;   in Loop: Header=BB8_231 Depth=1
	s_or_b64 exec, exec, s[20:21]
	s_lshl_b64 s[16:17], s[18:19], 12
	v_mov_b32_e32 v3, s17
	v_add_co_u32_e32 v2, vcc, s16, v24
	v_addc_co_u32_e32 v3, vcc, v25, v3, vcc
	v_or_b32_e32 v24, 2, v6
	v_cmp_gt_u64_e64 vcc, s[10:11], 56
	s_lshl_b32 s16, s12, 2
	v_cndmask_b32_e32 v6, v24, v6, vcc
	s_add_i32 s16, s16, 28
	s_and_b32 s16, s16, 0x1e0
	v_and_b32_e32 v6, 0xffffff1f, v6
	v_or_b32_e32 v6, s16, v6
	v_readfirstlane_b32 s16, v2
	v_readfirstlane_b32 s17, v3
	s_nop 4
	global_store_dwordx4 v30, v[6:9], s[16:17]
	global_store_dwordx4 v30, v[10:13], s[16:17] offset:16
	global_store_dwordx4 v30, v[14:17], s[16:17] offset:32
	;; [unrolled: 1-line block ×3, first 2 shown]
	s_and_saveexec_b64 s[16:17], s[4:5]
	s_cbranch_execz .LBB8_309
; %bb.302:                              ;   in Loop: Header=BB8_231 Depth=1
	global_load_dwordx2 v[14:15], v27, s[6:7] offset:32 glc
	global_load_dwordx2 v[6:7], v27, s[6:7] offset:40
	v_mov_b32_e32 v12, s14
	v_mov_b32_e32 v13, s15
	s_waitcnt vmcnt(0)
	v_readfirstlane_b32 s18, v6
	v_readfirstlane_b32 s19, v7
	s_and_b64 s[18:19], s[18:19], s[14:15]
	s_mul_i32 s19, s19, 24
	s_mul_hi_u32 s20, s18, 24
	s_mul_i32 s18, s18, 24
	s_add_i32 s19, s20, s19
	v_mov_b32_e32 v6, s19
	v_add_co_u32_e32 v10, vcc, s18, v22
	v_addc_co_u32_e32 v11, vcc, v23, v6, vcc
	global_store_dwordx2 v[10:11], v[14:15], off
	buffer_wbl2
	s_waitcnt vmcnt(0)
	global_atomic_cmpswap_x2 v[8:9], v27, v[12:15], s[6:7] offset:32 glc
	s_waitcnt vmcnt(0)
	v_cmp_ne_u64_e32 vcc, v[8:9], v[14:15]
	s_and_saveexec_b64 s[18:19], vcc
	s_cbranch_execz .LBB8_305
; %bb.303:                              ;   in Loop: Header=BB8_231 Depth=1
	s_mov_b64 s[20:21], 0
.LBB8_304:                              ;   Parent Loop BB8_231 Depth=1
                                        ; =>  This Inner Loop Header: Depth=2
	s_sleep 1
	global_store_dwordx2 v[10:11], v[8:9], off
	v_mov_b32_e32 v6, s14
	v_mov_b32_e32 v7, s15
	buffer_wbl2
	s_waitcnt vmcnt(0)
	global_atomic_cmpswap_x2 v[6:7], v27, v[6:9], s[6:7] offset:32 glc
	s_waitcnt vmcnt(0)
	v_cmp_eq_u64_e32 vcc, v[6:7], v[8:9]
	s_or_b64 s[20:21], vcc, s[20:21]
	v_pk_mov_b32 v[8:9], v[6:7], v[6:7] op_sel:[0,1]
	s_andn2_b64 exec, exec, s[20:21]
	s_cbranch_execnz .LBB8_304
.LBB8_305:                              ;   in Loop: Header=BB8_231 Depth=1
	s_or_b64 exec, exec, s[18:19]
	global_load_dwordx2 v[6:7], v27, s[6:7] offset:16
	s_mov_b64 s[20:21], exec
	v_mbcnt_lo_u32_b32 v8, s20, 0
	v_mbcnt_hi_u32_b32 v8, s21, v8
	v_cmp_eq_u32_e32 vcc, 0, v8
	s_and_saveexec_b64 s[18:19], vcc
	s_cbranch_execz .LBB8_307
; %bb.306:                              ;   in Loop: Header=BB8_231 Depth=1
	s_bcnt1_i32_b64 s20, s[20:21]
	v_mov_b32_e32 v26, s20
	buffer_wbl2
	s_waitcnt vmcnt(0)
	global_atomic_add_x2 v[6:7], v[26:27], off offset:8
.LBB8_307:                              ;   in Loop: Header=BB8_231 Depth=1
	s_or_b64 exec, exec, s[18:19]
	s_waitcnt vmcnt(0)
	global_load_dwordx2 v[8:9], v[6:7], off offset:16
	s_waitcnt vmcnt(0)
	v_cmp_eq_u64_e32 vcc, 0, v[8:9]
	s_cbranch_vccnz .LBB8_309
; %bb.308:                              ;   in Loop: Header=BB8_231 Depth=1
	global_load_dword v26, v[6:7], off offset:24
	s_waitcnt vmcnt(0)
	v_and_b32_e32 v6, 0xffffff, v26
	v_readfirstlane_b32 m0, v6
	buffer_wbl2
	global_store_dwordx2 v[8:9], v[26:27], off
	s_sendmsg sendmsg(MSG_INTERRUPT)
.LBB8_309:                              ;   in Loop: Header=BB8_231 Depth=1
	s_or_b64 exec, exec, s[16:17]
	v_add_co_u32_e32 v2, vcc, v2, v30
	v_addc_co_u32_e32 v3, vcc, 0, v3, vcc
	s_branch .LBB8_313
.LBB8_310:                              ;   in Loop: Header=BB8_313 Depth=2
	s_or_b64 exec, exec, s[16:17]
	v_readfirstlane_b32 s16, v6
	s_cmp_eq_u32 s16, 0
	s_cbranch_scc1 .LBB8_312
; %bb.311:                              ;   in Loop: Header=BB8_313 Depth=2
	s_sleep 1
	s_cbranch_execnz .LBB8_313
	s_branch .LBB8_315
.LBB8_312:                              ;   in Loop: Header=BB8_231 Depth=1
	s_branch .LBB8_315
.LBB8_313:                              ;   Parent Loop BB8_231 Depth=1
                                        ; =>  This Inner Loop Header: Depth=2
	v_mov_b32_e32 v6, 1
	s_and_saveexec_b64 s[16:17], s[4:5]
	s_cbranch_execz .LBB8_310
; %bb.314:                              ;   in Loop: Header=BB8_313 Depth=2
	global_load_dword v6, v[28:29], off offset:20 glc
	s_waitcnt vmcnt(0)
	buffer_invl2
	buffer_wbinvl1_vol
	v_and_b32_e32 v6, 1, v6
	s_branch .LBB8_310
.LBB8_315:                              ;   in Loop: Header=BB8_231 Depth=1
	global_load_dwordx4 v[6:9], v[2:3], off
	s_and_saveexec_b64 s[16:17], s[4:5]
	s_cbranch_execz .LBB8_230
; %bb.316:                              ;   in Loop: Header=BB8_231 Depth=1
	global_load_dwordx2 v[2:3], v27, s[6:7] offset:40
	global_load_dwordx2 v[12:13], v27, s[6:7] offset:24 glc
	global_load_dwordx2 v[14:15], v27, s[6:7]
	s_waitcnt vmcnt(3)
	v_mov_b32_e32 v9, s15
	s_waitcnt vmcnt(2)
	v_add_co_u32_e32 v11, vcc, 1, v2
	v_addc_co_u32_e32 v16, vcc, 0, v3, vcc
	v_add_co_u32_e32 v8, vcc, s14, v11
	v_addc_co_u32_e32 v9, vcc, v16, v9, vcc
	v_cmp_eq_u64_e32 vcc, 0, v[8:9]
	v_cndmask_b32_e32 v9, v9, v16, vcc
	v_cndmask_b32_e32 v8, v8, v11, vcc
	v_and_b32_e32 v3, v9, v3
	v_and_b32_e32 v2, v8, v2
	v_mul_lo_u32 v3, v3, 24
	v_mul_hi_u32 v11, v2, 24
	v_mul_lo_u32 v2, v2, 24
	v_add_u32_e32 v3, v11, v3
	s_waitcnt vmcnt(0)
	v_add_co_u32_e32 v2, vcc, v14, v2
	v_addc_co_u32_e32 v3, vcc, v15, v3, vcc
	v_mov_b32_e32 v10, v12
	global_store_dwordx2 v[2:3], v[12:13], off
	v_mov_b32_e32 v11, v13
	buffer_wbl2
	s_waitcnt vmcnt(0)
	global_atomic_cmpswap_x2 v[10:11], v27, v[8:11], s[6:7] offset:24 glc
	s_waitcnt vmcnt(0)
	v_cmp_ne_u64_e32 vcc, v[10:11], v[12:13]
	s_and_b64 exec, exec, vcc
	s_cbranch_execz .LBB8_230
; %bb.317:                              ;   in Loop: Header=BB8_231 Depth=1
	s_mov_b64 s[4:5], 0
.LBB8_318:                              ;   Parent Loop BB8_231 Depth=1
                                        ; =>  This Inner Loop Header: Depth=2
	s_sleep 1
	global_store_dwordx2 v[2:3], v[10:11], off
	buffer_wbl2
	s_waitcnt vmcnt(0)
	global_atomic_cmpswap_x2 v[12:13], v27, v[8:11], s[6:7] offset:24 glc
	s_waitcnt vmcnt(0)
	v_cmp_eq_u64_e32 vcc, v[12:13], v[10:11]
	s_or_b64 s[4:5], vcc, s[4:5]
	v_pk_mov_b32 v[10:11], v[12:13], v[12:13] op_sel:[0,1]
	s_andn2_b64 exec, exec, s[4:5]
	s_cbranch_execnz .LBB8_318
	s_branch .LBB8_230
.LBB8_319:
	s_mov_b64 s[4:5], 0
	s_branch .LBB8_321
.LBB8_320:
	s_mov_b64 s[4:5], -1
.LBB8_321:
	s_and_b64 vcc, exec, s[4:5]
	s_cbranch_vccz .LBB8_348
; %bb.322:
	v_readfirstlane_b32 s4, v31
	v_cmp_eq_u32_e64 s[4:5], s4, v31
	s_waitcnt vmcnt(0)
	v_pk_mov_b32 v[8:9], 0, 0
	s_and_saveexec_b64 s[8:9], s[4:5]
	s_cbranch_execz .LBB8_328
; %bb.323:
	v_mov_b32_e32 v2, 0
	global_load_dwordx2 v[6:7], v2, s[6:7] offset:24 glc
	s_waitcnt vmcnt(0)
	buffer_invl2
	buffer_wbinvl1_vol
	global_load_dwordx2 v[4:5], v2, s[6:7] offset:40
	global_load_dwordx2 v[8:9], v2, s[6:7]
	s_waitcnt vmcnt(1)
	v_and_b32_e32 v3, v4, v6
	v_and_b32_e32 v4, v5, v7
	v_mul_lo_u32 v4, v4, 24
	v_mul_hi_u32 v5, v3, 24
	v_mul_lo_u32 v3, v3, 24
	v_add_u32_e32 v5, v5, v4
	s_waitcnt vmcnt(0)
	v_add_co_u32_e32 v4, vcc, v8, v3
	v_addc_co_u32_e32 v5, vcc, v9, v5, vcc
	global_load_dwordx2 v[4:5], v[4:5], off glc
	s_waitcnt vmcnt(0)
	global_atomic_cmpswap_x2 v[8:9], v2, v[4:7], s[6:7] offset:24 glc
	s_waitcnt vmcnt(0)
	buffer_invl2
	buffer_wbinvl1_vol
	v_cmp_ne_u64_e32 vcc, v[8:9], v[6:7]
	s_and_saveexec_b64 s[10:11], vcc
	s_cbranch_execz .LBB8_327
; %bb.324:
	s_mov_b64 s[12:13], 0
.LBB8_325:                              ; =>This Inner Loop Header: Depth=1
	s_sleep 1
	global_load_dwordx2 v[4:5], v2, s[6:7] offset:40
	global_load_dwordx2 v[10:11], v2, s[6:7]
	v_pk_mov_b32 v[6:7], v[8:9], v[8:9] op_sel:[0,1]
	s_waitcnt vmcnt(1)
	v_and_b32_e32 v4, v4, v6
	v_and_b32_e32 v3, v5, v7
	s_waitcnt vmcnt(0)
	v_mad_u64_u32 v[4:5], s[14:15], v4, 24, v[10:11]
	v_mov_b32_e32 v8, v5
	v_mad_u64_u32 v[8:9], s[14:15], v3, 24, v[8:9]
	v_mov_b32_e32 v5, v8
	global_load_dwordx2 v[4:5], v[4:5], off glc
	s_waitcnt vmcnt(0)
	global_atomic_cmpswap_x2 v[8:9], v2, v[4:7], s[6:7] offset:24 glc
	s_waitcnt vmcnt(0)
	buffer_invl2
	buffer_wbinvl1_vol
	v_cmp_eq_u64_e32 vcc, v[8:9], v[6:7]
	s_or_b64 s[12:13], vcc, s[12:13]
	s_andn2_b64 exec, exec, s[12:13]
	s_cbranch_execnz .LBB8_325
; %bb.326:
	s_or_b64 exec, exec, s[12:13]
.LBB8_327:
	s_or_b64 exec, exec, s[10:11]
.LBB8_328:
	s_or_b64 exec, exec, s[8:9]
	v_mov_b32_e32 v2, 0
	global_load_dwordx2 v[10:11], v2, s[6:7] offset:40
	global_load_dwordx4 v[4:7], v2, s[6:7]
	v_readfirstlane_b32 s8, v8
	v_readfirstlane_b32 s9, v9
	s_mov_b64 s[10:11], exec
	s_waitcnt vmcnt(1)
	v_readfirstlane_b32 s12, v10
	v_readfirstlane_b32 s13, v11
	s_and_b64 s[12:13], s[8:9], s[12:13]
	s_mul_i32 s14, s13, 24
	s_mul_hi_u32 s15, s12, 24
	s_mul_i32 s16, s12, 24
	s_add_i32 s14, s15, s14
	v_mov_b32_e32 v3, s14
	s_waitcnt vmcnt(0)
	v_add_co_u32_e32 v8, vcc, s16, v4
	v_addc_co_u32_e32 v9, vcc, v5, v3, vcc
	s_and_saveexec_b64 s[14:15], s[4:5]
	s_cbranch_execz .LBB8_330
; %bb.329:
	v_pk_mov_b32 v[10:11], s[10:11], s[10:11] op_sel:[0,1]
	v_mov_b32_e32 v12, 2
	v_mov_b32_e32 v13, 1
	global_store_dwordx4 v[8:9], v[10:13], off offset:8
.LBB8_330:
	s_or_b64 exec, exec, s[14:15]
	s_lshl_b64 s[10:11], s[12:13], 12
	v_mov_b32_e32 v3, s11
	v_add_co_u32_e32 v6, vcc, s10, v6
	v_addc_co_u32_e32 v7, vcc, v7, v3, vcc
	s_movk_i32 s10, 0xff1d
	s_mov_b32 s12, 0
	v_and_or_b32 v0, v0, s10, 34
	v_mov_b32_e32 v3, v2
	v_readfirstlane_b32 s10, v6
	v_readfirstlane_b32 s11, v7
	s_mov_b32 s13, s12
	s_mov_b32 s14, s12
	;; [unrolled: 1-line block ×3, first 2 shown]
	s_nop 1
	global_store_dwordx4 v30, v[0:3], s[10:11]
	s_nop 0
	v_pk_mov_b32 v[0:1], s[12:13], s[12:13] op_sel:[0,1]
	v_pk_mov_b32 v[2:3], s[14:15], s[14:15] op_sel:[0,1]
	global_store_dwordx4 v30, v[0:3], s[10:11] offset:16
	global_store_dwordx4 v30, v[0:3], s[10:11] offset:32
	;; [unrolled: 1-line block ×3, first 2 shown]
	s_and_saveexec_b64 s[10:11], s[4:5]
	s_cbranch_execz .LBB8_338
; %bb.331:
	v_mov_b32_e32 v6, 0
	global_load_dwordx2 v[12:13], v6, s[6:7] offset:32 glc
	global_load_dwordx2 v[0:1], v6, s[6:7] offset:40
	v_mov_b32_e32 v10, s8
	v_mov_b32_e32 v11, s9
	s_waitcnt vmcnt(0)
	v_readfirstlane_b32 s12, v0
	v_readfirstlane_b32 s13, v1
	s_and_b64 s[12:13], s[12:13], s[8:9]
	s_mul_i32 s13, s13, 24
	s_mul_hi_u32 s14, s12, 24
	s_mul_i32 s12, s12, 24
	s_add_i32 s13, s14, s13
	v_mov_b32_e32 v0, s13
	v_add_co_u32_e32 v4, vcc, s12, v4
	v_addc_co_u32_e32 v5, vcc, v5, v0, vcc
	global_store_dwordx2 v[4:5], v[12:13], off
	buffer_wbl2
	s_waitcnt vmcnt(0)
	global_atomic_cmpswap_x2 v[2:3], v6, v[10:13], s[6:7] offset:32 glc
	s_waitcnt vmcnt(0)
	v_cmp_ne_u64_e32 vcc, v[2:3], v[12:13]
	s_and_saveexec_b64 s[12:13], vcc
	s_cbranch_execz .LBB8_334
; %bb.332:
	s_mov_b64 s[14:15], 0
.LBB8_333:                              ; =>This Inner Loop Header: Depth=1
	s_sleep 1
	global_store_dwordx2 v[4:5], v[2:3], off
	v_mov_b32_e32 v0, s8
	v_mov_b32_e32 v1, s9
	buffer_wbl2
	s_waitcnt vmcnt(0)
	global_atomic_cmpswap_x2 v[0:1], v6, v[0:3], s[6:7] offset:32 glc
	s_waitcnt vmcnt(0)
	v_cmp_eq_u64_e32 vcc, v[0:1], v[2:3]
	s_or_b64 s[14:15], vcc, s[14:15]
	v_pk_mov_b32 v[2:3], v[0:1], v[0:1] op_sel:[0,1]
	s_andn2_b64 exec, exec, s[14:15]
	s_cbranch_execnz .LBB8_333
.LBB8_334:
	s_or_b64 exec, exec, s[12:13]
	v_mov_b32_e32 v3, 0
	global_load_dwordx2 v[0:1], v3, s[6:7] offset:16
	s_mov_b64 s[12:13], exec
	v_mbcnt_lo_u32_b32 v2, s12, 0
	v_mbcnt_hi_u32_b32 v2, s13, v2
	v_cmp_eq_u32_e32 vcc, 0, v2
	s_and_saveexec_b64 s[14:15], vcc
	s_cbranch_execz .LBB8_336
; %bb.335:
	s_bcnt1_i32_b64 s12, s[12:13]
	v_mov_b32_e32 v2, s12
	buffer_wbl2
	s_waitcnt vmcnt(0)
	global_atomic_add_x2 v[0:1], v[2:3], off offset:8
.LBB8_336:
	s_or_b64 exec, exec, s[14:15]
	s_waitcnt vmcnt(0)
	global_load_dwordx2 v[2:3], v[0:1], off offset:16
	s_waitcnt vmcnt(0)
	v_cmp_eq_u64_e32 vcc, 0, v[2:3]
	s_cbranch_vccnz .LBB8_338
; %bb.337:
	global_load_dword v0, v[0:1], off offset:24
	v_mov_b32_e32 v1, 0
	buffer_wbl2
	s_waitcnt vmcnt(0)
	global_store_dwordx2 v[2:3], v[0:1], off
	v_and_b32_e32 v0, 0xffffff, v0
	v_readfirstlane_b32 m0, v0
	s_sendmsg sendmsg(MSG_INTERRUPT)
.LBB8_338:
	s_or_b64 exec, exec, s[10:11]
	s_branch .LBB8_342
.LBB8_339:                              ;   in Loop: Header=BB8_342 Depth=1
	s_or_b64 exec, exec, s[10:11]
	v_readfirstlane_b32 s10, v0
	s_cmp_eq_u32 s10, 0
	s_cbranch_scc1 .LBB8_341
; %bb.340:                              ;   in Loop: Header=BB8_342 Depth=1
	s_sleep 1
	s_cbranch_execnz .LBB8_342
	s_branch .LBB8_344
.LBB8_341:
	s_branch .LBB8_344
.LBB8_342:                              ; =>This Inner Loop Header: Depth=1
	v_mov_b32_e32 v0, 1
	s_and_saveexec_b64 s[10:11], s[4:5]
	s_cbranch_execz .LBB8_339
; %bb.343:                              ;   in Loop: Header=BB8_342 Depth=1
	global_load_dword v0, v[8:9], off offset:20 glc
	s_waitcnt vmcnt(0)
	buffer_invl2
	buffer_wbinvl1_vol
	v_and_b32_e32 v0, 1, v0
	s_branch .LBB8_339
.LBB8_344:
	s_and_saveexec_b64 s[10:11], s[4:5]
	s_cbranch_execz .LBB8_347
; %bb.345:
	v_mov_b32_e32 v6, 0
	global_load_dwordx2 v[4:5], v6, s[6:7] offset:40
	global_load_dwordx2 v[8:9], v6, s[6:7] offset:24 glc
	global_load_dwordx2 v[10:11], v6, s[6:7]
	v_mov_b32_e32 v1, s9
	s_mov_b64 s[4:5], 0
	s_waitcnt vmcnt(2)
	v_add_co_u32_e32 v3, vcc, 1, v4
	v_addc_co_u32_e32 v7, vcc, 0, v5, vcc
	v_add_co_u32_e32 v0, vcc, s8, v3
	v_addc_co_u32_e32 v1, vcc, v7, v1, vcc
	v_cmp_eq_u64_e32 vcc, 0, v[0:1]
	v_cndmask_b32_e32 v1, v1, v7, vcc
	v_cndmask_b32_e32 v0, v0, v3, vcc
	v_and_b32_e32 v3, v1, v5
	v_and_b32_e32 v4, v0, v4
	v_mul_lo_u32 v3, v3, 24
	v_mul_hi_u32 v5, v4, 24
	v_mul_lo_u32 v4, v4, 24
	v_add_u32_e32 v3, v5, v3
	s_waitcnt vmcnt(0)
	v_add_co_u32_e32 v4, vcc, v10, v4
	v_addc_co_u32_e32 v5, vcc, v11, v3, vcc
	v_mov_b32_e32 v2, v8
	global_store_dwordx2 v[4:5], v[8:9], off
	v_mov_b32_e32 v3, v9
	buffer_wbl2
	s_waitcnt vmcnt(0)
	global_atomic_cmpswap_x2 v[2:3], v6, v[0:3], s[6:7] offset:24 glc
	s_waitcnt vmcnt(0)
	v_cmp_ne_u64_e32 vcc, v[2:3], v[8:9]
	s_and_b64 exec, exec, vcc
	s_cbranch_execz .LBB8_347
.LBB8_346:                              ; =>This Inner Loop Header: Depth=1
	s_sleep 1
	global_store_dwordx2 v[4:5], v[2:3], off
	buffer_wbl2
	s_waitcnt vmcnt(0)
	global_atomic_cmpswap_x2 v[8:9], v6, v[0:3], s[6:7] offset:24 glc
	s_waitcnt vmcnt(0)
	v_cmp_eq_u64_e32 vcc, v[8:9], v[2:3]
	s_or_b64 s[4:5], vcc, s[4:5]
	v_pk_mov_b32 v[2:3], v[8:9], v[8:9] op_sel:[0,1]
	s_andn2_b64 exec, exec, s[4:5]
	s_cbranch_execnz .LBB8_346
.LBB8_347:
	s_or_b64 exec, exec, s[10:11]
.LBB8_348:
	s_add_u32 s8, s44, 0x58
	s_addc_u32 s9, s45, 0
	s_getpc_b64 s[4:5]
	s_add_u32 s4, s4, .str.29@rel32@lo+4
	s_addc_u32 s5, s5, .str.29@rel32@hi+12
	s_getpc_b64 s[6:7]
	s_add_u32 s6, s6, .str.19@rel32@lo+4
	s_addc_u32 s7, s7, .str.19@rel32@hi+12
	s_getpc_b64 s[10:11]
	s_add_u32 s10, s10, __PRETTY_FUNCTION__._ZN7VecsMemIjLi8192EE5fetchEi@rel32@lo+4
	s_addc_u32 s11, s11, __PRETTY_FUNCTION__._ZN7VecsMemIjLi8192EE5fetchEi@rel32@hi+12
	s_waitcnt vmcnt(0)
	v_mov_b32_e32 v0, s4
	v_mov_b32_e32 v1, s5
	;; [unrolled: 1-line block ×7, first 2 shown]
	s_getpc_b64 s[12:13]
	s_add_u32 s12, s12, __assert_fail@rel32@lo+4
	s_addc_u32 s13, s13, __assert_fail@rel32@hi+12
	s_swappc_b64 s[30:31], s[12:13]
	s_or_b64 s[4:5], s[72:73], exec
.LBB8_349:
	s_or_b64 exec, exec, s[34:35]
	s_andn2_b64 s[6:7], s[72:73], exec
	s_and_b64 s[4:5], s[4:5], exec
	s_or_b64 s[98:99], s[6:7], s[4:5]
	s_orn2_b64 s[4:5], s[28:29], exec
.LBB8_350:
	s_or_b64 exec, exec, s[26:27]
	s_mov_b64 s[6:7], s[96:97]
	s_and_saveexec_b64 s[56:57], s[4:5]
	s_cbranch_execz .LBB8_374
; %bb.351:
	v_add_u32_e32 v0, 0x4000, v42
	v_cmp_lt_i32_e32 vcc, 0, v43
	ds_write_b64 v0, v[44:45] offset:8
	s_and_saveexec_b64 s[4:5], vcc
	s_cbranch_execz .LBB8_355
; %bb.352:
	v_mov_b32_e32 v1, 8
	v_add_u32_e32 v1, 4, v1
	s_mov_b64 s[6:7], 0
	v_mov_b32_e32 v2, v43
.LBB8_353:                              ; =>This Inner Loop Header: Depth=1
	buffer_load_dword v3, v1, s[0:3], 0 offen
	v_add_u32_e32 v2, -1, v2
	v_cmp_eq_u32_e32 vcc, 0, v2
	s_or_b64 s[6:7], vcc, s[6:7]
	v_add_u32_e32 v1, 4, v1
	s_waitcnt vmcnt(0)
	v_lshrrev_b32_e32 v4, 1, v3
	v_or_b32_e32 v4, v4, v3
	v_and_b32_e32 v4, 0x55555555, v4
	v_lshl_add_u32 v4, v4, 1, v4
	v_xor_b32_e32 v3, v4, v3
	flat_store_dword v[44:45], v3
	v_add_co_u32_e32 v44, vcc, 4, v44
	v_addc_co_u32_e32 v45, vcc, 0, v45, vcc
	s_andn2_b64 exec, exec, s[6:7]
	s_cbranch_execnz .LBB8_353
; %bb.354:
	s_or_b64 exec, exec, s[6:7]
	ds_write_b32 v0, v43 offset:4
.LBB8_355:
	v_writelane_b32 v47, s56, 31
	v_writelane_b32 v47, s57, 32
	v_writelane_b32 v47, s52, 33
	v_writelane_b32 v47, s53, 34
	v_writelane_b32 v47, s48, 35
	v_writelane_b32 v47, s49, 36
	v_writelane_b32 v47, s74, 37
	v_writelane_b32 v47, s75, 38
	v_writelane_b32 v47, s72, 39
	v_writelane_b32 v47, s73, 40
	v_writelane_b32 v47, s70, 41
	v_writelane_b32 v47, s71, 42
	v_writelane_b32 v47, s94, 43
	v_writelane_b32 v47, s95, 44
	v_writelane_b32 v47, s68, 45
	v_writelane_b32 v47, s69, 46
	v_writelane_b32 v47, s66, 47
	v_writelane_b32 v47, s67, 48
	s_or_b64 exec, exec, s[4:5]
	s_mov_b64 s[4:5], src_shared_base
	s_mov_b32 s4, 8
	s_mov_b64 s[6:7], src_private_base
	s_add_u32 s8, s44, 0x58
	v_mov_b32_e32 v1, s5
	v_mov_b32_e32 v3, s4
	s_mov_b64 s[4:5], src_private_base
	v_lshlrev_b32_e32 v2, 1, v41
	s_addc_u32 s9, s45, 0
	v_mov_b32_e32 v4, s5
	v_mov_b32_e32 v5, 0x8010
	v_mov_b32_e32 v6, s7
	s_mov_b64 s[94:95], s[64:65]
	s_getpc_b64 s[10:11]
	s_add_u32 s10, s10, _ZN3sop12sopFactorRecEPNS_3SopEiP7VecsMemIjLi8192EEPN8subgUtil4SubgILi256EEE@rel32@lo+4
	s_addc_u32 s11, s11, _ZN3sop12sopFactorRecEPNS_3SopEiP7VecsMemIjLi8192EEPN8subgUtil4SubgILi256EEE@rel32@hi+12
	s_swappc_b64 s[30:31], s[10:11]
	v_ashrrev_i32_e32 v2, 1, v0
	v_cmp_ge_i32_e32 vcc, v2, v41
	s_mov_b64 s[26:27], s[96:97]
	s_mov_b64 s[28:29], s[98:99]
	s_and_saveexec_b64 s[4:5], vcc
	v_readlane_b32 s46, v47, 9
	s_mov_b64 s[64:65], s[94:95]
	v_readlane_b32 s66, v47, 47
	v_readlane_b32 s68, v47, 45
	;; [unrolled: 1-line block ×9, first 2 shown]
	s_xor_b64 s[34:35], exec, s[4:5]
	v_readlane_b32 s47, v47, 10
	v_readlane_b32 s67, v47, 48
	;; [unrolled: 1-line block ×10, first 2 shown]
	s_cbranch_execz .LBB8_363
; %bb.356:
	s_mov_b64 s[4:5], -1
	s_mov_b64 s[6:7], s[98:99]
	s_mov_b64 s[26:27], exec
	v_readlane_b32 s8, v47, 27
	v_readlane_b32 s9, v47, 28
	s_and_b64 s[8:9], s[26:27], s[8:9]
	s_mov_b64 exec, s[8:9]
	s_cbranch_execz .LBB8_362
; %bb.357:
	v_mov_b32_e32 v1, 0x8010
	buffer_load_dword v0, v1, s[0:3], 0 offen
	v_mov_b32_e32 v1, 0x8010
	s_mov_b64 s[28:29], 0
	s_waitcnt vmcnt(0)
	v_lshl_add_u32 v2, v0, 3, v1
	buffer_load_dword v0, v2, s[0:3], 0 offen
	buffer_load_dword v1, v2, s[0:3], 0 offen offset:4
	s_waitcnt vmcnt(1)
	v_lshrrev_b32_e32 v3, 1, v0
	s_waitcnt vmcnt(0)
	v_cmp_lt_i64_e32 vcc, -1, v[0:1]
	v_cmp_ge_i32_e64 s[4:5], v3, v1
	s_and_b64 s[4:5], vcc, s[4:5]
	s_and_saveexec_b64 s[6:7], s[4:5]
	s_xor_b64 s[4:5], exec, s[6:7]
	s_cbranch_execz .LBB8_359
; %bb.358:
	s_mov_b64 s[28:29], exec
	v_xor_b32_e32 v0, 1, v0
	buffer_store_dword v1, v2, s[0:3], 0 offen offset:4
	buffer_store_dword v0, v2, s[0:3], 0 offen
.LBB8_359:
	s_or_saveexec_b64 s[36:37], s[4:5]
	s_mov_b64 s[4:5], s[98:99]
	s_xor_b64 exec, exec, s[36:37]
	s_cbranch_execz .LBB8_361
; %bb.360:
	v_readlane_b32 s4, v47, 29
	v_readlane_b32 s5, v47, 30
	s_add_u32 s8, s4, 0x58
	s_addc_u32 s9, s5, 0
	s_getpc_b64 s[4:5]
	s_add_u32 s4, s4, .str.46@rel32@lo+4
	s_addc_u32 s5, s5, .str.46@rel32@hi+12
	s_getpc_b64 s[6:7]
	s_add_u32 s6, s6, .str.44@rel32@lo+4
	s_addc_u32 s7, s7, .str.44@rel32@hi+12
	s_getpc_b64 s[10:11]
	s_add_u32 s10, s10, __PRETTY_FUNCTION__._ZN8subgUtil18formAndNodeKeyFlagEiii@rel32@lo+4
	s_addc_u32 s11, s11, __PRETTY_FUNCTION__._ZN8subgUtil18formAndNodeKeyFlagEiii@rel32@hi+12
	v_mov_b32_e32 v0, s4
	v_mov_b32_e32 v1, s5
	;; [unrolled: 1-line block ×7, first 2 shown]
	s_getpc_b64 s[12:13]
	s_add_u32 s12, s12, __assert_fail@rel32@lo+4
	s_addc_u32 s13, s13, __assert_fail@rel32@hi+12
	s_swappc_b64 s[30:31], s[12:13]
	s_or_b64 s[4:5], s[98:99], exec
.LBB8_361:
	s_or_b64 exec, exec, s[36:37]
	s_andn2_b64 s[6:7], s[98:99], exec
	s_and_b64 s[4:5], s[4:5], exec
	s_or_b64 s[6:7], s[6:7], s[4:5]
	s_orn2_b64 s[4:5], s[28:29], exec
.LBB8_362:
	s_or_b64 exec, exec, s[26:27]
	s_andn2_b64 s[8:9], s[98:99], exec
	s_and_b64 s[6:7], s[6:7], exec
	s_or_b64 s[28:29], s[8:9], s[6:7]
	s_andn2_b64 s[6:7], s[96:97], exec
	s_and_b64 s[4:5], s[4:5], exec
	s_or_b64 s[26:27], s[6:7], s[4:5]
                                        ; implicit-def: $vgpr2
                                        ; implicit-def: $vgpr0
.LBB8_363:
	s_or_saveexec_b64 s[34:35], s[34:35]
	v_readlane_b32 s44, v47, 29
	v_readlane_b32 s45, v47, 30
	s_xor_b64 exec, exec, s[34:35]
	s_cbranch_execz .LBB8_373
; %bb.364:
	v_mov_b32_e32 v3, 0x8010
	buffer_load_dword v1, v3, s[0:3], 0 offen
	s_mov_b64 s[36:37], s[28:29]
	s_waitcnt vmcnt(0)
	v_cmp_ne_u32_e32 vcc, v1, v41
	s_and_saveexec_b64 s[4:5], vcc
	s_xor_b64 s[38:39], exec, s[4:5]
	s_cbranch_execz .LBB8_366
; %bb.365:
	s_add_u32 s8, s44, 0x58
	s_addc_u32 s9, s45, 0
	s_getpc_b64 s[4:5]
	s_add_u32 s4, s4, .str.32@rel32@lo+4
	s_addc_u32 s5, s5, .str.32@rel32@hi+12
	s_getpc_b64 s[6:7]
	s_add_u32 s6, s6, .str.31@rel32@lo+4
	s_addc_u32 s7, s7, .str.31@rel32@hi+12
	s_getpc_b64 s[10:11]
	s_add_u32 s10, s10, __PRETTY_FUNCTION__._ZN3sop9sopFactorEPjiiPKiiP7VecsMemIjLi8192EEPN8subgUtil4SubgILi256EEE@rel32@lo+4
	s_addc_u32 s11, s11, __PRETTY_FUNCTION__._ZN3sop9sopFactorEPjiiPKiiP7VecsMemIjLi8192EEPN8subgUtil4SubgILi256EEE@rel32@hi+12
	v_mov_b32_e32 v0, s4
	v_mov_b32_e32 v1, s5
	;; [unrolled: 1-line block ×7, first 2 shown]
	s_getpc_b64 s[12:13]
	s_add_u32 s12, s12, __assert_fail@rel32@lo+4
	s_addc_u32 s13, s13, __assert_fail@rel32@hi+12
	s_swappc_b64 s[30:31], s[12:13]
	s_or_b64 s[36:37], s[28:29], exec
                                        ; implicit-def: $vgpr2
                                        ; implicit-def: $vgpr0
.LBB8_366:
	s_or_saveexec_b64 s[38:39], s[38:39]
	s_mov_b64 s[4:5], s[26:27]
	s_xor_b64 exec, exec, s[38:39]
	s_cbranch_execz .LBB8_372
; %bb.367:
	v_ashrrev_i32_e32 v73, 31, v72
	v_readlane_b32 s4, v47, 11
	v_lshlrev_b64 v[4:5], 2, v[72:73]
	v_readlane_b32 s5, v47, 12
	v_mov_b32_e32 v1, s5
	v_add_co_u32_e32 v4, vcc, s4, v4
	v_ashrrev_i32_e32 v3, 31, v2
	v_addc_co_u32_e32 v1, vcc, v1, v5, vcc
	v_lshlrev_b64 v[2:3], 2, v[2:3]
	v_add_co_u32_e32 v2, vcc, v4, v2
	v_addc_co_u32_e32 v3, vcc, v1, v3, vcc
	global_load_dword v1, v[2:3], off
	s_mov_b64 s[40:41], s[26:27]
	v_readlane_b32 s6, v47, 13
	v_readlane_b32 s7, v47, 14
	;; [unrolled: 1-line block ×14, first 2 shown]
	s_waitcnt vmcnt(0)
	v_lshlrev_b32_e32 v1, 1, v1
	v_cmp_lt_i32_e32 vcc, -1, v1
	s_and_saveexec_b64 s[4:5], vcc
	s_xor_b64 s[4:5], exec, s[4:5]
	s_cbranch_execz .LBB8_369
; %bb.368:
	v_and_b32_e32 v0, 1, v0
	v_readlane_b32 s6, v47, 27
	v_cmp_eq_u32_e32 vcc, 1, v0
	v_readlane_b32 s7, v47, 28
	s_xor_b64 s[6:7], s[6:7], vcc
	v_add_u32_e32 v2, 1, v41
	v_mov_b32_e32 v3, 0x8010
	v_cndmask_b32_e64 v0, 0, 1, s[6:7]
	buffer_store_dword v2, v3, s[0:3], 0 offen
	v_mov_b32_e32 v2, 0x8010
	v_or_b32_e32 v1, v1, v0
	v_lshl_add_u32 v2, v41, 3, v2
	s_or_b64 s[40:41], s[26:27], exec
	v_lshl_or_b32 v0, v1, 1, v0
	buffer_store_dword v1, v2, s[0:3], 0 offen offset:12
	buffer_store_dword v0, v2, s[0:3], 0 offen offset:8
.LBB8_369:
	s_or_saveexec_b64 s[42:43], s[4:5]
	s_mov_b64 s[4:5], s[36:37]
	s_xor_b64 exec, exec, s[42:43]
	s_cbranch_execz .LBB8_371
; %bb.370:
	s_add_u32 s8, s44, 0x58
	s_addc_u32 s9, s45, 0
	s_getpc_b64 s[4:5]
	s_add_u32 s4, s4, .str.46@rel32@lo+4
	s_addc_u32 s5, s5, .str.46@rel32@hi+12
	s_getpc_b64 s[6:7]
	s_add_u32 s6, s6, .str.44@rel32@lo+4
	s_addc_u32 s7, s7, .str.44@rel32@hi+12
	s_getpc_b64 s[10:11]
	s_add_u32 s10, s10, __PRETTY_FUNCTION__._ZN8subgUtil18formAndNodeKeyFlagEiii@rel32@lo+4
	s_addc_u32 s11, s11, __PRETTY_FUNCTION__._ZN8subgUtil18formAndNodeKeyFlagEiii@rel32@hi+12
	v_mov_b32_e32 v0, s4
	v_mov_b32_e32 v1, s5
	;; [unrolled: 1-line block ×7, first 2 shown]
	s_getpc_b64 s[12:13]
	s_add_u32 s12, s12, __assert_fail@rel32@lo+4
	s_addc_u32 s13, s13, __assert_fail@rel32@hi+12
	s_swappc_b64 s[30:31], s[12:13]
	s_or_b64 s[4:5], s[36:37], exec
.LBB8_371:
	s_or_b64 exec, exec, s[42:43]
	s_andn2_b64 s[6:7], s[36:37], exec
	s_and_b64 s[4:5], s[4:5], exec
	s_or_b64 s[36:37], s[6:7], s[4:5]
	s_andn2_b64 s[4:5], s[26:27], exec
	s_and_b64 s[6:7], s[40:41], exec
	s_or_b64 s[4:5], s[4:5], s[6:7]
.LBB8_372:
	s_or_b64 exec, exec, s[38:39]
	s_andn2_b64 s[6:7], s[28:29], exec
	s_and_b64 s[8:9], s[36:37], exec
	s_or_b64 s[28:29], s[6:7], s[8:9]
	s_andn2_b64 s[6:7], s[26:27], exec
	s_and_b64 s[4:5], s[4:5], exec
	s_or_b64 s[26:27], s[6:7], s[4:5]
.LBB8_373:
	s_or_b64 exec, exec, s[34:35]
	s_andn2_b64 s[4:5], s[98:99], exec
	s_and_b64 s[6:7], s[28:29], exec
	s_or_b64 s[98:99], s[4:5], s[6:7]
	s_andn2_b64 s[4:5], s[96:97], exec
	s_and_b64 s[6:7], s[26:27], exec
	s_or_b64 s[6:7], s[4:5], s[6:7]
.LBB8_374:
	s_or_b64 exec, exec, s[56:57]
	s_andn2_b64 s[4:5], s[72:73], exec
	s_and_b64 s[8:9], s[98:99], exec
	s_or_b64 s[26:27], s[4:5], s[8:9]
	s_andn2_b64 s[4:5], s[96:97], exec
	s_and_b64 s[6:7], s[6:7], exec
	s_or_b64 s[96:97], s[4:5], s[6:7]
	s_andn2_b64 s[48:49], s[48:49], exec
	s_or_b64 exec, exec, s[52:53]
	s_and_saveexec_b64 s[4:5], s[48:49]
	s_cbranch_execz .LBB8_380
.LBB8_375:
	v_add_u32_e32 v0, 1, v41
	v_mov_b32_e32 v1, 0x8010
	buffer_store_dword v0, v1, s[0:3], 0 offen
	v_mov_b32_e32 v0, 0x8010
	v_lshl_add_u32 v0, v41, 3, v0
	s_mov_b64 s[6:7], exec
	v_readlane_b32 s8, v47, 2
	v_readlane_b32 s9, v47, 3
	s_and_b64 s[8:9], s[6:7], s[8:9]
	s_xor_b64 s[6:7], s[8:9], s[6:7]
	s_mov_b64 exec, s[8:9]
	s_cbranch_execz .LBB8_377
; %bb.376:
	v_mov_b32_e32 v1, 1
	buffer_store_dword v1, v0, s[0:3], 0 offen offset:12
	v_mov_b32_e32 v1, 3
	buffer_store_dword v1, v0, s[0:3], 0 offen offset:8
                                        ; implicit-def: $vgpr0
.LBB8_377:
	s_andn2_saveexec_b64 s[6:7], s[6:7]
	s_cbranch_execz .LBB8_379
; %bb.378:
	v_mov_b32_e32 v1, 0
	buffer_store_dword v1, v0, s[0:3], 0 offen offset:12
	buffer_store_dword v1, v0, s[0:3], 0 offen offset:8
.LBB8_379:
	s_or_b64 exec, exec, s[6:7]
	s_or_b64 s[96:97], s[96:97], exec
.LBB8_380:
	s_or_b64 exec, exec, s[4:5]
	s_mov_b64 s[4:5], 0
	s_mov_b64 s[6:7], 0
	;; [unrolled: 1-line block ×3, first 2 shown]
	s_and_saveexec_b64 s[28:29], s[96:97]
	s_cbranch_execz .LBB8_409
; %bb.381:
	v_mov_b32_e32 v0, 0x8010
	s_waitcnt lgkmcnt(0)
	s_barrier
	buffer_load_dword v6, v0, s[0:3], 0 offen
	v_readlane_b32 s4, v47, 27
	v_readlane_b32 s5, v47, 28
	v_cndmask_b32_e64 v0, 0, 1, s[4:5]
	v_lshl_or_b32 v0, v74, 1, v0
	v_readlane_b32 s4, v47, 11
	v_ashrrev_i32_e32 v1, 31, v0
	v_readlane_b32 s12, v47, 19
	v_readlane_b32 s13, v47, 20
	v_lshlrev_b64 v[2:3], 2, v[0:1]
	v_mov_b32_e32 v5, s13
	v_add_co_u32_e32 v4, vcc, s12, v2
	v_addc_co_u32_e32 v5, vcc, v5, v3, vcc
	s_mov_b64 s[34:35], s[26:27]
	v_readlane_b32 s5, v47, 12
	v_readlane_b32 s6, v47, 13
	;; [unrolled: 1-line block ×13, first 2 shown]
	s_waitcnt vmcnt(0)
	v_sub_u32_e32 v1, v6, v41
	v_cmp_gt_i32_e32 vcc, 1, v1
	global_store_dword v[4:5], v1, off
	s_and_saveexec_b64 s[4:5], vcc
	s_xor_b64 s[36:37], exec, s[4:5]
	s_cbranch_execz .LBB8_383
; %bb.382:
	s_add_u32 s8, s44, 0x58
	s_addc_u32 s9, s45, 0
	s_getpc_b64 s[4:5]
	s_add_u32 s4, s4, .str.13@rel32@lo+4
	s_addc_u32 s5, s5, .str.13@rel32@hi+12
	s_getpc_b64 s[6:7]
	s_add_u32 s6, s6, .str.1@rel32@lo+4
	s_addc_u32 s7, s7, .str.1@rel32@hi+12
	s_getpc_b64 s[10:11]
	s_add_u32 s10, s10, __PRETTY_FUNCTION__._Z15factorFromTruthPKiS0_PyPiS2_S2_PKjS4_S0_S4_i@rel32@lo+4
	s_addc_u32 s11, s11, __PRETTY_FUNCTION__._Z15factorFromTruthPKiS0_PyPiS2_S2_PKjS4_S0_S4_i@rel32@hi+12
	v_mov_b32_e32 v0, s4
	v_mov_b32_e32 v1, s5
	;; [unrolled: 1-line block ×7, first 2 shown]
	s_getpc_b64 s[12:13]
	s_add_u32 s12, s12, __assert_fail@rel32@lo+4
	s_addc_u32 s13, s13, __assert_fail@rel32@hi+12
	s_swappc_b64 s[30:31], s[12:13]
	s_or_b64 s[34:35], s[26:27], exec
                                        ; implicit-def: $vgpr2_vgpr3
                                        ; implicit-def: $vgpr6
                                        ; implicit-def: $vgpr41
                                        ; implicit-def: $vgpr0
                                        ; implicit-def: $vgpr46
                                        ; implicit-def: $vgpr72
.LBB8_383:
	s_or_saveexec_b64 s[36:37], s[36:37]
	s_mov_b64 s[4:5], 0
	s_mov_b64 s[6:7], 0
	;; [unrolled: 1-line block ×3, first 2 shown]
	s_xor_b64 exec, exec, s[36:37]
	s_cbranch_execz .LBB8_408
; %bb.384:
	v_readlane_b32 s4, v47, 11
	v_readlane_b32 s10, v47, 17
	;; [unrolled: 1-line block ×3, first 2 shown]
	v_mov_b32_e32 v1, s11
	v_add_co_u32_e32 v2, vcc, s10, v2
	v_addc_co_u32_e32 v3, vcc, v1, v3, vcc
	global_load_dword v1, v[2:3], off
	v_readlane_b32 s5, v47, 12
	s_mov_b64 s[4:5], s[34:35]
	v_readlane_b32 s6, v47, 13
	v_readlane_b32 s7, v47, 14
	;; [unrolled: 1-line block ×12, first 2 shown]
	s_waitcnt vmcnt(0)
	v_cmp_ne_u32_e32 vcc, -1, v1
	s_and_saveexec_b64 s[6:7], vcc
	s_xor_b64 s[38:39], exec, s[6:7]
	s_cbranch_execz .LBB8_386
; %bb.385:
	s_add_u32 s8, s44, 0x58
	s_addc_u32 s9, s45, 0
	s_getpc_b64 s[4:5]
	s_add_u32 s4, s4, .str.11@rel32@lo+4
	s_addc_u32 s5, s5, .str.11@rel32@hi+12
	s_getpc_b64 s[6:7]
	s_add_u32 s6, s6, .str.1@rel32@lo+4
	s_addc_u32 s7, s7, .str.1@rel32@hi+12
	s_getpc_b64 s[10:11]
	s_add_u32 s10, s10, __PRETTY_FUNCTION__._Z15factorFromTruthPKiS0_PyPiS2_S2_PKjS4_S0_S4_i@rel32@lo+4
	s_addc_u32 s11, s11, __PRETTY_FUNCTION__._Z15factorFromTruthPKiS0_PyPiS2_S2_PKjS4_S0_S4_i@rel32@hi+12
	v_mov_b32_e32 v0, s4
	v_mov_b32_e32 v1, s5
	;; [unrolled: 1-line block ×7, first 2 shown]
	s_getpc_b64 s[12:13]
	s_add_u32 s12, s12, __assert_fail@rel32@lo+4
	s_addc_u32 s13, s13, __assert_fail@rel32@hi+12
	s_swappc_b64 s[30:31], s[12:13]
	s_or_b64 s[4:5], s[34:35], exec
                                        ; implicit-def: $vgpr2_vgpr3
                                        ; implicit-def: $vgpr6
                                        ; implicit-def: $vgpr41
                                        ; implicit-def: $vgpr0
                                        ; implicit-def: $vgpr46
                                        ; implicit-def: $vgpr72
.LBB8_386:
	s_or_saveexec_b64 s[6:7], s[38:39]
	s_mov_b64 s[8:9], 0
	s_mov_b64 s[10:11], 0
	;; [unrolled: 1-line block ×3, first 2 shown]
	s_xor_b64 exec, exec, s[6:7]
	s_cbranch_execz .LBB8_407
; %bb.387:
	v_mov_b32_e32 v7, 0
	v_cmp_gt_i32_e32 vcc, v6, v41
	s_mov_b64 s[16:17], -1
	s_mov_b64 s[12:13], 0
	global_store_dword v[2:3], v7, off
	s_and_saveexec_b64 s[10:11], vcc
	s_cbranch_execz .LBB8_404
; %bb.388:
	v_readlane_b32 s12, v47, 4
	v_lshlrev_b32_e32 v1, 3, v46
	v_lshlrev_b32_e32 v2, 3, v72
	s_lshl_b32 s33, s12, 2
	v_sub_u32_e32 v1, v1, v2
	v_mov_b32_e32 v2, 0x8010
	s_add_i32 s33, s33, -1
	v_add3_u32 v8, v1, v2, 8
	s_mov_b32 s38, 0
	s_mov_b64 s[16:17], 0
                                        ; implicit-def: $sgpr14_sgpr15
                                        ; implicit-def: $sgpr12_sgpr13
	s_branch .LBB8_390
.LBB8_389:                              ;   in Loop: Header=BB8_390 Depth=1
	s_or_b64 exec, exec, s[22:23]
	s_xor_b64 s[20:21], s[20:21], -1
	s_xor_b64 s[18:19], s[18:19], -1
	s_and_b64 s[22:23], exec, s[30:31]
	s_or_b64 s[16:17], s[22:23], s[16:17]
	s_andn2_b64 s[12:13], s[12:13], exec
	s_and_b64 s[20:21], s[20:21], exec
	s_andn2_b64 s[14:15], s[14:15], exec
	s_and_b64 s[18:19], s[18:19], exec
	s_or_b64 s[12:13], s[12:13], s[20:21]
	s_or_b64 s[14:15], s[14:15], s[18:19]
	s_andn2_b64 exec, exec, s[16:17]
	s_cbranch_execz .LBB8_401
.LBB8_390:                              ; =>This Inner Loop Header: Depth=1
	s_cmp_lg_u32 s38, 8
	s_cbranch_scc1 .LBB8_398
; %bb.391:                              ;   in Loop: Header=BB8_390 Depth=1
	s_mov_b64 s[20:21], exec
	v_mbcnt_lo_u32_b32 v1, s20, 0
	v_mbcnt_hi_u32_b32 v1, s21, v1
	v_cmp_eq_u32_e32 vcc, 0, v1
                                        ; implicit-def: $vgpr2
	s_and_saveexec_b64 s[18:19], vcc
	s_cbranch_execz .LBB8_393
; %bb.392:                              ;   in Loop: Header=BB8_390 Depth=1
	s_bcnt1_i32_b64 s20, s[20:21]
	v_readlane_b32 s48, v47, 11
	v_mov_b32_e32 v2, s20
	v_readlane_b32 s58, v47, 21
	v_readlane_b32 s59, v47, 22
	;; [unrolled: 1-line block ×7, first 2 shown]
	global_atomic_add v2, v7, v2, s[58:59] glc
	v_readlane_b32 s54, v47, 17
	v_readlane_b32 s55, v47, 18
	;; [unrolled: 1-line block ×8, first 2 shown]
.LBB8_393:                              ;   in Loop: Header=BB8_390 Depth=1
	s_or_b64 exec, exec, s[18:19]
	s_waitcnt vmcnt(0)
	v_readfirstlane_b32 s18, v2
	v_add_u32_e32 v2, s18, v1
	v_cmp_gt_i32_e32 vcc, s33, v2
	s_mov_b64 s[18:19], -1
	s_mov_b64 s[24:25], 0
	s_mov_b64 s[20:21], 0
                                        ; implicit-def: $sgpr38
	s_and_saveexec_b64 s[22:23], vcc
	s_cbranch_execz .LBB8_397
; %bb.394:                              ;   in Loop: Header=BB8_390 Depth=1
	v_readlane_b32 s48, v47, 11
	v_readlane_b32 s49, v47, 12
	;; [unrolled: 1-line block ×6, first 2 shown]
	v_ashrrev_i32_e32 v3, 31, v2
	v_readlane_b32 s54, v47, 17
	v_readlane_b32 s55, v47, 18
	s_mov_b64 s[48:49], s[52:53]
	v_lshlrev_b64 v[4:5], 2, v[2:3]
	s_mov_b64 s[50:51], s[54:55]
	v_mov_b32_e32 v1, s51
	v_add_co_u32_e32 v4, vcc, s50, v4
	v_addc_co_u32_e32 v5, vcc, v1, v5, vcc
	global_load_dword v1, v[4:5], off
	v_readlane_b32 s56, v47, 19
	v_readlane_b32 s57, v47, 20
	;; [unrolled: 1-line block ×8, first 2 shown]
                                        ; implicit-def: $sgpr38
	s_waitcnt vmcnt(0)
	v_cmp_eq_u32_e32 vcc, -1, v1
	s_and_saveexec_b64 s[18:19], vcc
	s_cbranch_execz .LBB8_396
; %bb.395:                              ;   in Loop: Header=BB8_390 Depth=1
	v_readlane_b32 s48, v47, 11
	v_readlane_b32 s49, v47, 12
	;; [unrolled: 1-line block ×6, first 2 shown]
	v_ashrrev_i32_e32 v1, 31, v0
	v_readlane_b32 s54, v47, 17
	v_readlane_b32 s55, v47, 18
	s_mov_b64 s[48:49], s[52:53]
	v_lshlrev_b64 v[0:1], 2, v[0:1]
	s_mov_b64 s[50:51], s[54:55]
	v_mov_b32_e32 v3, s51
	v_add_co_u32_e32 v0, vcc, s50, v0
	s_mov_b64 s[24:25], exec
	v_addc_co_u32_e32 v1, vcc, v3, v1, vcc
	s_mov_b32 s38, 0
	v_readlane_b32 s56, v47, 19
	v_readlane_b32 s57, v47, 20
	;; [unrolled: 1-line block ×8, first 2 shown]
	global_store_dword v[0:1], v2, off
	global_store_dword v[4:5], v7, off
.LBB8_396:                              ;   in Loop: Header=BB8_390 Depth=1
	s_or_b64 exec, exec, s[18:19]
	s_mov_b64 s[20:21], exec
	s_xor_b64 s[18:19], exec, -1
	s_and_b64 s[24:25], s[24:25], exec
	v_mov_b32_e32 v0, v2
.LBB8_397:                              ;   in Loop: Header=BB8_390 Depth=1
	s_or_b64 exec, exec, s[22:23]
	s_branch .LBB8_399
.LBB8_398:                              ;   in Loop: Header=BB8_390 Depth=1
	s_mov_b64 s[24:25], -1
                                        ; implicit-def: $sgpr18_sgpr19
                                        ; implicit-def: $sgpr20_sgpr21
.LBB8_399:                              ;   in Loop: Header=BB8_390 Depth=1
	s_mov_b64 s[30:31], -1
	s_and_saveexec_b64 s[22:23], s[24:25]
	s_cbranch_execz .LBB8_389
; %bb.400:                              ;   in Loop: Header=BB8_390 Depth=1
	buffer_load_dword v2, v8, s[0:3], 0 offen
	buffer_load_dword v3, v8, s[0:3], 0 offen offset:4
	v_lshl_add_u32 v4, v0, 3, s38
	v_readlane_b32 s48, v47, 11
	v_readlane_b32 s49, v47, 12
	;; [unrolled: 1-line block ×6, first 2 shown]
	v_add_u32_e32 v41, 1, v41
	v_ashrrev_i32_e32 v5, 31, v4
	v_readlane_b32 s54, v47, 17
	v_readlane_b32 s55, v47, 18
	s_mov_b64 s[48:49], s[52:53]
	v_cmp_ge_i32_e32 vcc, v41, v6
	v_lshlrev_b64 v[4:5], 3, v[4:5]
	s_add_i32 s24, s38, 1
	v_mov_b32_e32 v1, s49
	s_orn2_b64 s[30:31], vcc, exec
	v_add_co_u32_e32 v4, vcc, s48, v4
	v_add_u32_e32 v8, 8, v8
	s_andn2_b64 s[20:21], s[20:21], exec
	s_andn2_b64 s[18:19], s[18:19], exec
	v_addc_co_u32_e32 v5, vcc, v1, v5, vcc
	s_mov_b32 s38, s24
	v_readlane_b32 s56, v47, 19
	v_readlane_b32 s57, v47, 20
	;; [unrolled: 1-line block ×8, first 2 shown]
	s_mov_b64 s[50:51], s[54:55]
	s_waitcnt vmcnt(0)
	global_store_dwordx2 v[4:5], v[2:3], off
	s_branch .LBB8_389
.LBB8_401:
	s_or_b64 exec, exec, s[16:17]
	s_mov_b64 s[16:17], 0
	s_mov_b64 s[20:21], -1
	s_mov_b64 s[18:19], 0
	s_and_saveexec_b64 s[22:23], s[14:15]
	s_xor_b64 s[14:15], exec, s[22:23]
; %bb.402:
	s_mov_b64 s[18:19], exec
	s_xor_b64 s[20:21], exec, -1
	s_and_b64 s[16:17], s[12:13], exec
; %bb.403:
	s_or_b64 exec, exec, s[14:15]
	s_and_b64 s[14:15], s[20:21], exec
	s_and_b64 s[12:13], s[18:19], exec
	s_orn2_b64 s[16:17], s[16:17], exec
.LBB8_404:
	s_or_b64 exec, exec, s[10:11]
	s_and_saveexec_b64 s[10:11], s[16:17]
	s_cbranch_execz .LBB8_406
; %bb.405:
	s_mov_b64 s[8:9], exec
	s_andn2_b64 s[12:13], s[12:13], exec
	s_barrier
.LBB8_406:
	s_or_b64 exec, exec, s[10:11]
	s_and_b64 s[14:15], s[14:15], exec
	s_and_b64 s[10:11], s[12:13], exec
	;; [unrolled: 1-line block ×3, first 2 shown]
.LBB8_407:
	s_or_b64 exec, exec, s[6:7]
	s_andn2_b64 s[6:7], s[34:35], exec
	s_and_b64 s[4:5], s[4:5], exec
	s_or_b64 s[34:35], s[6:7], s[4:5]
	s_and_b64 s[12:13], s[14:15], exec
	s_and_b64 s[6:7], s[10:11], exec
	;; [unrolled: 1-line block ×3, first 2 shown]
.LBB8_408:
	s_or_b64 exec, exec, s[36:37]
	s_andn2_b64 s[8:9], s[26:27], exec
	s_and_b64 s[10:11], s[34:35], exec
	s_or_b64 s[26:27], s[8:9], s[10:11]
	s_and_b64 s[8:9], s[12:13], exec
	s_and_b64 s[6:7], s[6:7], exec
	;; [unrolled: 1-line block ×3, first 2 shown]
.LBB8_409:
	s_or_b64 exec, exec, s[28:29]
	s_andn2_b64 s[10:11], s[72:73], exec
	s_and_b64 s[12:13], s[26:27], exec
	s_or_b64 s[72:73], s[10:11], s[12:13]
	s_and_b64 s[8:9], s[8:9], exec
	s_and_b64 s[6:7], s[6:7], exec
	;; [unrolled: 1-line block ×3, first 2 shown]
.LBB8_410:
	s_or_b64 exec, exec, s[74:75]
	s_andn2_b64 s[10:11], s[68:69], exec
	s_and_b64 s[12:13], s[72:73], exec
	s_or_b64 s[68:69], s[10:11], s[12:13]
	s_andn2_b64 s[66:67], s[66:67], exec
	s_and_b64 s[10:11], s[8:9], exec
	s_and_b64 s[8:9], s[6:7], exec
	;; [unrolled: 1-line block ×3, first 2 shown]
.LBB8_411:
	s_or_b64 exec, exec, s[70:71]
	s_andn2_b64 s[4:5], s[94:95], exec
	s_and_b64 s[12:13], s[68:69], exec
	s_or_b64 s[94:95], s[4:5], s[12:13]
	s_and_b64 s[12:13], s[66:67], exec
	s_and_b64 s[10:11], s[10:11], exec
	;; [unrolled: 1-line block ×4, first 2 shown]
.LBB8_412:
	s_or_b64 exec, exec, s[64:65]
	v_readlane_b32 s6, v47, 5
	v_readlane_b32 s7, v47, 6
	s_andn2_b64 s[6:7], s[6:7], exec
	s_and_b64 s[14:15], s[94:95], exec
	s_or_b64 s[6:7], s[6:7], s[14:15]
	v_writelane_b32 v47, s6, 5
	v_writelane_b32 v47, s7, 6
	s_and_b64 s[12:13], s[12:13], exec
	s_and_b64 s[10:11], s[10:11], exec
	;; [unrolled: 1-line block ×4, first 2 shown]
.LBB8_413:
	v_readlane_b32 s4, v47, 7
	v_readlane_b32 s5, v47, 8
	s_or_b64 exec, exec, s[4:5]
	v_readlane_b32 s4, v47, 5
	v_readlane_b32 s5, v47, 6
	s_and_b64 s[26:27], s[4:5], exec
	s_and_b64 s[28:29], s[12:13], exec
	;; [unrolled: 1-line block ×4, first 2 shown]
	s_orn2_b64 s[8:9], s[34:35], exec
.LBB8_414:
	s_or_b64 exec, exec, s[46:47]
	s_and_saveexec_b64 s[4:5], s[8:9]
	s_or_b64 exec, exec, s[4:5]
	s_and_saveexec_b64 s[4:5], s[6:7]
	s_xor_b64 s[34:35], exec, s[4:5]
	s_cbranch_execnz .LBB8_419
; %bb.415:
	s_or_b64 exec, exec, s[34:35]
	s_and_saveexec_b64 s[4:5], s[36:37]
	s_xor_b64 s[34:35], exec, s[4:5]
	s_cbranch_execnz .LBB8_420
.LBB8_416:
	s_or_b64 exec, exec, s[34:35]
	s_and_saveexec_b64 s[34:35], s[28:29]
	s_cbranch_execnz .LBB8_421
.LBB8_417:
	s_or_b64 exec, exec, s[34:35]
	s_and_saveexec_b64 s[4:5], s[26:27]
	s_cbranch_execnz .LBB8_422
.LBB8_418:
	s_endpgm
.LBB8_419:
	s_add_u32 s8, s44, 0x58
	s_addc_u32 s9, s45, 0
	s_getpc_b64 s[4:5]
	s_add_u32 s4, s4, .str.11@rel32@lo+4
	s_addc_u32 s5, s5, .str.11@rel32@hi+12
	s_getpc_b64 s[6:7]
	s_add_u32 s6, s6, .str.1@rel32@lo+4
	s_addc_u32 s7, s7, .str.1@rel32@hi+12
	s_getpc_b64 s[10:11]
	s_add_u32 s10, s10, __PRETTY_FUNCTION__._Z15factorFromTruthPKiS0_PyPiS2_S2_PKjS4_S0_S4_i@rel32@lo+4
	s_addc_u32 s11, s11, __PRETTY_FUNCTION__._Z15factorFromTruthPKiS0_PyPiS2_S2_PKjS4_S0_S4_i@rel32@hi+12
	v_mov_b32_e32 v0, s4
	v_mov_b32_e32 v1, s5
	;; [unrolled: 1-line block ×7, first 2 shown]
	s_getpc_b64 s[12:13]
	s_add_u32 s12, s12, __assert_fail@rel32@lo+4
	s_addc_u32 s13, s13, __assert_fail@rel32@hi+12
	s_swappc_b64 s[30:31], s[12:13]
	s_or_b64 s[26:27], s[26:27], exec
	s_or_b64 exec, exec, s[34:35]
	s_and_saveexec_b64 s[4:5], s[36:37]
	s_xor_b64 s[34:35], exec, s[4:5]
	s_cbranch_execz .LBB8_416
.LBB8_420:
	s_add_u32 s8, s44, 0x58
	s_addc_u32 s9, s45, 0
	s_getpc_b64 s[4:5]
	s_add_u32 s4, s4, .str.14@rel32@lo+4
	s_addc_u32 s5, s5, .str.14@rel32@hi+12
	s_getpc_b64 s[6:7]
	s_add_u32 s6, s6, .str.1@rel32@lo+4
	s_addc_u32 s7, s7, .str.1@rel32@hi+12
	s_getpc_b64 s[10:11]
	s_add_u32 s10, s10, __PRETTY_FUNCTION__._Z15factorFromTruthPKiS0_PyPiS2_S2_PKjS4_S0_S4_i@rel32@lo+4
	s_addc_u32 s11, s11, __PRETTY_FUNCTION__._Z15factorFromTruthPKiS0_PyPiS2_S2_PKjS4_S0_S4_i@rel32@hi+12
	v_mov_b32_e32 v0, s4
	v_mov_b32_e32 v1, s5
	;; [unrolled: 1-line block ×7, first 2 shown]
	s_getpc_b64 s[12:13]
	s_add_u32 s12, s12, __assert_fail@rel32@lo+4
	s_addc_u32 s13, s13, __assert_fail@rel32@hi+12
	s_swappc_b64 s[30:31], s[12:13]
	s_or_b64 s[26:27], s[26:27], exec
	s_or_b64 exec, exec, s[34:35]
	s_and_saveexec_b64 s[34:35], s[28:29]
	s_cbranch_execz .LBB8_417
.LBB8_421:
	s_add_u32 s8, s44, 0x58
	s_addc_u32 s9, s45, 0
	s_getpc_b64 s[4:5]
	s_add_u32 s4, s4, .str.18@rel32@lo+4
	s_addc_u32 s5, s5, .str.18@rel32@hi+12
	s_getpc_b64 s[6:7]
	s_add_u32 s6, s6, .str.19@rel32@lo+4
	s_addc_u32 s7, s7, .str.19@rel32@hi+12
	s_getpc_b64 s[10:11]
	s_add_u32 s10, s10, __PRETTY_FUNCTION__._ZN7VecsMemIjLi8192EE6shrinkEi@rel32@lo+4
	s_addc_u32 s11, s11, __PRETTY_FUNCTION__._ZN7VecsMemIjLi8192EE6shrinkEi@rel32@hi+12
	v_mov_b32_e32 v0, s4
	v_mov_b32_e32 v1, s5
	;; [unrolled: 1-line block ×7, first 2 shown]
	s_getpc_b64 s[12:13]
	s_add_u32 s12, s12, __assert_fail@rel32@lo+4
	s_addc_u32 s13, s13, __assert_fail@rel32@hi+12
	s_swappc_b64 s[30:31], s[12:13]
	s_or_b64 s[26:27], s[26:27], exec
	s_or_b64 exec, exec, s[34:35]
	s_and_saveexec_b64 s[4:5], s[26:27]
	s_cbranch_execz .LBB8_418
.LBB8_422:
	; divergent unreachable
	s_endpgm
	.section	.rodata,"a",@progbits
	.p2align	6, 0x0
	.amdhsa_kernel _Z15factorFromTruthPKiS0_PyPiS2_S2_PKjS4_S0_S4_i
		.amdhsa_group_segment_fixed_size 32768
		.amdhsa_private_segment_fixed_size 35200
		.amdhsa_kernarg_size 344
		.amdhsa_user_sgpr_count 10
		.amdhsa_user_sgpr_private_segment_buffer 1
		.amdhsa_user_sgpr_dispatch_ptr 1
		.amdhsa_user_sgpr_queue_ptr 0
		.amdhsa_user_sgpr_kernarg_segment_ptr 1
		.amdhsa_user_sgpr_dispatch_id 0
		.amdhsa_user_sgpr_flat_scratch_init 1
		.amdhsa_user_sgpr_kernarg_preload_length 0
		.amdhsa_user_sgpr_kernarg_preload_offset 0
		.amdhsa_user_sgpr_private_segment_size 0
		.amdhsa_uses_dynamic_stack 1
		.amdhsa_system_sgpr_private_segment_wavefront_offset 1
		.amdhsa_system_sgpr_workgroup_id_x 1
		.amdhsa_system_sgpr_workgroup_id_y 0
		.amdhsa_system_sgpr_workgroup_id_z 0
		.amdhsa_system_sgpr_workgroup_info 0
		.amdhsa_system_vgpr_workitem_id 2
		.amdhsa_next_free_vgpr 120
		.amdhsa_next_free_sgpr 100
		.amdhsa_accum_offset 80
		.amdhsa_reserve_vcc 1
		.amdhsa_reserve_flat_scratch 1
		.amdhsa_float_round_mode_32 0
		.amdhsa_float_round_mode_16_64 0
		.amdhsa_float_denorm_mode_32 3
		.amdhsa_float_denorm_mode_16_64 3
		.amdhsa_dx10_clamp 1
		.amdhsa_ieee_mode 1
		.amdhsa_fp16_overflow 0
		.amdhsa_tg_split 0
		.amdhsa_exception_fp_ieee_invalid_op 0
		.amdhsa_exception_fp_denorm_src 0
		.amdhsa_exception_fp_ieee_div_zero 0
		.amdhsa_exception_fp_ieee_overflow 0
		.amdhsa_exception_fp_ieee_underflow 0
		.amdhsa_exception_fp_ieee_inexact 0
		.amdhsa_exception_int_div_zero 0
	.end_amdhsa_kernel
	.text
.Lfunc_end8:
	.size	_Z15factorFromTruthPKiS0_PyPiS2_S2_PKjS4_S0_S4_i, .Lfunc_end8-_Z15factorFromTruthPKiS0_PyPiS2_S2_PKjS4_S0_S4_i
                                        ; -- End function
	.section	.AMDGPU.csdata,"",@progbits
; Kernel info:
; codeLenInByte = 17616
; NumSgprs: 106
; NumVgprs: 78
; NumAgprs: 40
; TotalNumVgprs: 120
; ScratchSize: 35200
; MemoryBound: 0
; FloatMode: 240
; IeeeMode: 1
; LDSByteSize: 32768 bytes/workgroup (compile time only)
; SGPRBlocks: 13
; VGPRBlocks: 14
; NumSGPRsForWavesPerEU: 106
; NumVGPRsForWavesPerEU: 120
; AccumOffset: 80
; Occupancy: 4
; WaveLimiterHint : 1
; COMPUTE_PGM_RSRC2:SCRATCH_EN: 1
; COMPUTE_PGM_RSRC2:USER_SGPR: 10
; COMPUTE_PGM_RSRC2:TRAP_HANDLER: 0
; COMPUTE_PGM_RSRC2:TGID_X_EN: 1
; COMPUTE_PGM_RSRC2:TGID_Y_EN: 0
; COMPUTE_PGM_RSRC2:TGID_Z_EN: 0
; COMPUTE_PGM_RSRC2:TIDIG_COMP_CNT: 2
; COMPUTE_PGM_RSRC3_GFX90A:ACCUM_OFFSET: 19
; COMPUTE_PGM_RSRC3_GFX90A:TG_SPLIT: 0
	.text
	.p2alignl 6, 3212836864
	.fill 256, 4, 3212836864
	.type	__const.__assert_fail.fmt,@object ; @__const.__assert_fail.fmt
	.section	.rodata.str1.16,"aMS",@progbits,1
	.p2align	4, 0x0
__const.__assert_fail.fmt:
	.asciz	"%s:%u: %s: Device-side assertion `%s' failed.\n"
	.size	__const.__assert_fail.fmt, 47

	.type	.str,@object                    ; @.str
	.section	.rodata.str1.1,"aMS",@progbits,1
.str:
	.asciz	"lit0 < lit1"
	.size	.str, 12

	.type	.str.1,@object                  ; @.str.1
.str.1:
	.asciz	"/root/src/amdgpu-assembly/repos/zjin-lcf__HeCBench/src/logic-rewrite-hip/refactor_core.cu"
	.size	.str.1, 90

	.type	__PRETTY_FUNCTION__._Z12evaluateSubgiPiPKiiiiS1_PKyPKjiPKN8subgUtil4SubgILi256EEE,@object ; @__PRETTY_FUNCTION__._Z12evaluateSubgiPiPKiiiiS1_PKyPKjiPKN8subgUtil4SubgILi256EEE
__PRETTY_FUNCTION__._Z12evaluateSubgiPiPKiiiiS1_PKyPKjiPKN8subgUtil4SubgILi256EEE:
	.asciz	"int evaluateSubg(int, int *, const int *, int, int, int, const int *, const uint64 *, const uint32 *, int, const subgUtil::Subg<SUBG_CAP> *)"
	.size	__PRETTY_FUNCTION__._Z12evaluateSubgiPiPKiiiiS1_PKyPKjiPKN8subgUtil4SubgILi256EEE, 141

	.type	.str.2,@object                  ; @.str.2
.str.2:
	.asciz	"id0 < i && id1 < i"
	.size	.str.2, 19

	.type	.str.7,@object                  ; @.str.7
.str.7:
	.asciz	"endIdx - startIdx == nWords"
	.size	.str.7, 28

	.type	__PRETTY_FUNCTION__._Z8resynCutPKiS0_S0_S0_PKyPKjiS0_PyPiS6_S6_PjS0_S4_ii,@object ; @__PRETTY_FUNCTION__._Z8resynCutPKiS0_S0_S0_PKyPKjiS0_PyPiS6_S6_PjS0_S4_ii
__PRETTY_FUNCTION__._Z8resynCutPKiS0_S0_S0_PKyPKjiS0_PyPiS6_S6_PjS0_S4_ii:
	.asciz	"void resynCut(const int *, const int *, const int *, const int *, const uint64 *, const uint32 *, int, const int *, uint64 *, int *, int *, int *, unsigned int *, const int *, const unsigned int *, int, int)"
	.size	__PRETTY_FUNCTION__._Z8resynCutPKiS0_S0_S0_PKyPKjiS0_PyPiS6_S6_PjS0_S4_ii, 208

	.type	.str.8,@object                  ; @.str.8
.str.8:
	.asciz	"vSubgLens[idx] > 0"
	.size	.str.8, 19

	.type	.str.9,@object                  ; @.str.9
.str.9:
	.asciz	"vSubgLinks[idx] == -1"
	.size	.str.9, 22

	.type	.str.10,@object                 ; @.str.10
.str.10:
	.asciz	"currRowIdx < 2 * nResyn - 1"
	.size	.str.10, 28

	.type	.str.11,@object                 ; @.str.11
.str.11:
	.asciz	"vSubgLinks[currRowIdx] == -1"
	.size	.str.11, 29

	.type	.str.12,@object                 ; @.str.12
.str.12:
	.asciz	"truthEndIdx - truthStartIdx == dUtils::TruthWordNum(nVars)"
	.size	.str.12, 59

	.type	__PRETTY_FUNCTION__._Z15factorFromTruthPKiS0_PyPiS2_S2_PKjS4_S0_S4_i,@object ; @__PRETTY_FUNCTION__._Z15factorFromTruthPKiS0_PyPiS2_S2_PKjS4_S0_S4_i
__PRETTY_FUNCTION__._Z15factorFromTruthPKiS0_PyPiS2_S2_PKjS4_S0_S4_i:
	.asciz	"void factorFromTruth(const int *, const int *, uint64 *, int *, int *, int *, const unsigned int *, const unsigned int *, const int *, const unsigned int *, int)"
	.size	__PRETTY_FUNCTION__._Z15factorFromTruthPKiS0_PyPiS2_S2_PKjS4_S0_S4_i, 162

	.type	.str.13,@object                 ; @.str.13
.str.13:
	.asciz	"vSubgLens[currRowIdx] > 0"
	.size	.str.13, 26

	.type	.str.14,@object                 ; @.str.14
.str.14:
	.asciz	"currRowIdx < 4 * nResyn - 1"
	.size	.str.14, 28

	.type	.str.15,@object                 ; @.str.15
.str.15:
	.asciz	"truthUtil::truthEqual(puTruth, pResult, nVars)"
	.size	.str.15, 47

	.type	.str.16,@object                 ; @.str.16
.str.16:
	.asciz	"/root/src/amdgpu-assembly/repos/zjin-lcf__HeCBench/src/logic-rewrite-hip/minato_isop.cuh"
	.size	.str.16, 89

	.type	__PRETTY_FUNCTION__._ZN3sop10minatoIsopEPKjiP7VecsMemIjLi8192EE,@object ; @__PRETTY_FUNCTION__._ZN3sop10minatoIsopEPKjiP7VecsMemIjLi8192EE
__PRETTY_FUNCTION__._ZN3sop10minatoIsopEPKjiP7VecsMemIjLi8192EE:
	.asciz	"void sop::minatoIsop(const unsigned int *, int, VecsMem<unsigned int, ISOP_FACTOR_MEM_CAP> *)"
	.size	__PRETTY_FUNCTION__._ZN3sop10minatoIsopEPKjiP7VecsMemIjLi8192EE, 94

	.type	.str.17,@object                 ; @.str.17
.str.17:
	.asciz	"pTemp != NULL"
	.size	.str.17, 14

	.type	.str.18,@object                 ; @.str.18
.str.18:
	.asciz	"nSize >= nSizeNew"
	.size	.str.18, 18

	.type	.str.19,@object                 ; @.str.19
.str.19:
	.asciz	"/root/src/amdgpu-assembly/repos/zjin-lcf__HeCBench/src/logic-rewrite-hip/vectors.cuh"
	.size	.str.19, 85

	.type	__PRETTY_FUNCTION__._ZN7VecsMemIjLi8192EE6shrinkEi,@object ; @__PRETTY_FUNCTION__._ZN7VecsMemIjLi8192EE6shrinkEi
__PRETTY_FUNCTION__._ZN7VecsMemIjLi8192EE6shrinkEi:
	.asciz	"void VecsMem<unsigned int, 8192>::shrink(int) [T = unsigned int, nCap = 8192]"
	.size	__PRETTY_FUNCTION__._ZN7VecsMemIjLi8192EE6shrinkEi, 78

	.type	__PRETTY_FUNCTION__._ZN3sop13minatoIsopRecEPKjS1_iPNS_3SopEP7VecsMemIjLi8192EE,@object ; @__PRETTY_FUNCTION__._ZN3sop13minatoIsopRecEPKjS1_iPNS_3SopEP7VecsMemIjLi8192EE
__PRETTY_FUNCTION__._ZN3sop13minatoIsopRecEPKjS1_iPNS_3SopEP7VecsMemIjLi8192EE:
	.asciz	"unsigned int *sop::minatoIsopRec(const unsigned int *, const unsigned int *, int, Sop *, VecsMem<unsigned int, ISOP_FACTOR_MEM_CAP> *)"
	.size	__PRETTY_FUNCTION__._ZN3sop13minatoIsopRecEPKjS1_iPNS_3SopEP7VecsMemIjLi8192EE, 135

	.type	.str.20,@object                 ; @.str.20
.str.20:
	.asciz	"pcRes->pCubes != NULL"
	.size	.str.20, 22

	.type	.str.21,@object                 ; @.str.21
.str.21:
	.asciz	"Var >= 0"
	.size	.str.21, 9

	.type	.str.23,@object                 ; @.str.23
.str.23:
	.asciz	"k == pcRes->nCubes"
	.size	.str.23, 19

	.type	.str.24,@object                 ; @.str.24
.str.24:
	.asciz	"iVar < nVars"
	.size	.str.24, 13

	.type	.str.25,@object                 ; @.str.25
.str.25:
	.asciz	"/root/src/amdgpu-assembly/repos/zjin-lcf__HeCBench/src/logic-rewrite-hip/truth_utils.cuh"
	.size	.str.25, 89

	.type	__PRETTY_FUNCTION__._ZN9truthUtil12varInSupportEPKjii,@object ; @__PRETTY_FUNCTION__._ZN9truthUtil12varInSupportEPKjii
__PRETTY_FUNCTION__._ZN9truthUtil12varInSupportEPKjii:
	.asciz	"int truthUtil::varInSupport(const unsigned int *, int, int)"
	.size	__PRETTY_FUNCTION__._ZN9truthUtil12varInSupportEPKjii, 60

	.type	__const._ZN3sop14minatoIsop5RecEjjiPNS_3SopEP7VecsMemIjLi8192EE.uMasks,@object ; @__const._ZN3sop14minatoIsop5RecEjjiPNS_3SopEP7VecsMemIjLi8192EE.uMasks
	.section	.rodata,"a",@progbits
	.p2align	4, 0x0
__const._ZN3sop14minatoIsop5RecEjjiPNS_3SopEP7VecsMemIjLi8192EE.uMasks:
	.long	2863311530                      ; 0xaaaaaaaa
	.long	3435973836                      ; 0xcccccccc
	;; [unrolled: 1-line block ×5, first 2 shown]
	.size	__const._ZN3sop14minatoIsop5RecEjjiPNS_3SopEP7VecsMemIjLi8192EE.uMasks, 20

	.type	__PRETTY_FUNCTION__._ZN3sop14minatoIsop5RecEjjiPNS_3SopEP7VecsMemIjLi8192EE,@object ; @__PRETTY_FUNCTION__._ZN3sop14minatoIsop5RecEjjiPNS_3SopEP7VecsMemIjLi8192EE
	.section	.rodata.str1.1,"aMS",@progbits,1
__PRETTY_FUNCTION__._ZN3sop14minatoIsop5RecEjjiPNS_3SopEP7VecsMemIjLi8192EE:
	.asciz	"unsigned int sop::minatoIsop5Rec(unsigned int, unsigned int, int, Sop *, VecsMem<unsigned int, ISOP_FACTOR_MEM_CAP> *)"
	.size	__PRETTY_FUNCTION__._ZN3sop14minatoIsop5RecEjjiPNS_3SopEP7VecsMemIjLi8192EE, 119

	.type	.str.27,@object                 ; @.str.27
.str.27:
	.asciz	"(uOn & ~uOnDc) == 0"
	.size	.str.27, 20

	.type	.str.28,@object                 ; @.str.28
.str.28:
	.asciz	"try to decrease K in refactor !!!\n"
	.size	.str.28, 35

	.type	.str.29,@object                 ; @.str.29
.str.29:
	.asciz	"0"
	.size	.str.29, 2

	.type	__PRETTY_FUNCTION__._ZN7VecsMemIjLi8192EE5fetchEi,@object ; @__PRETTY_FUNCTION__._ZN7VecsMemIjLi8192EE5fetchEi
__PRETTY_FUNCTION__._ZN7VecsMemIjLi8192EE5fetchEi:
	.asciz	"T *VecsMem<unsigned int, 8192>::fetch(int) [T = unsigned int, nCap = 8192]"
	.size	__PRETTY_FUNCTION__._ZN7VecsMemIjLi8192EE5fetchEi, 75

	.type	.str.30,@object                 ; @.str.30
.str.30:
	.asciz	"nVars < 16"
	.size	.str.30, 11

	.type	.str.31,@object                 ; @.str.31
.str.31:
	.asciz	"/root/src/amdgpu-assembly/repos/zjin-lcf__HeCBench/src/logic-rewrite-hip/alg_factor.cuh"
	.size	.str.31, 88

	.type	__PRETTY_FUNCTION__._ZN3sop9sopFactorEPjiiPKiiP7VecsMemIjLi8192EEPN8subgUtil4SubgILi256EEE,@object ; @__PRETTY_FUNCTION__._ZN3sop9sopFactorEPjiiPKiiP7VecsMemIjLi8192EEPN8subgUtil4SubgILi256EEE
__PRETTY_FUNCTION__._ZN3sop9sopFactorEPjiiPKiiP7VecsMemIjLi8192EEPN8subgUtil4SubgILi256EEE:
	.asciz	"void sop::sopFactor(unsigned int *, int, int, const int *, int, VecsMem<unsigned int, ISOP_FACTOR_MEM_CAP> *, subgUtil::Subg<SUBG_CAP> *)"
	.size	__PRETTY_FUNCTION__._ZN3sop9sopFactorEPjiiPKiiP7VecsMemIjLi8192EEPN8subgUtil4SubgILi256EEE, 138

	.type	.str.32,@object                 ; @.str.32
.str.32:
	.asciz	"subg->nSize == nVars"
	.size	.str.32, 21

	.type	.str.33,@object                 ; @.str.33
.str.33:
	.asciz	"cSop->nCubes > 0"
	.size	.str.33, 17

	.type	__PRETTY_FUNCTION__._ZN3sop12sopFactorRecEPNS_3SopEiP7VecsMemIjLi8192EEPN8subgUtil4SubgILi256EEE,@object ; @__PRETTY_FUNCTION__._ZN3sop12sopFactorRecEPNS_3SopEiP7VecsMemIjLi8192EEPN8subgUtil4SubgILi256EEE
__PRETTY_FUNCTION__._ZN3sop12sopFactorRecEPNS_3SopEiP7VecsMemIjLi8192EEPN8subgUtil4SubgILi256EEE:
	.asciz	"int sop::sopFactorRec(Sop *, int, VecsMem<unsigned int, ISOP_FACTOR_MEM_CAP> *, subgUtil::Subg<SUBG_CAP> *)"
	.size	__PRETTY_FUNCTION__._ZN3sop12sopFactorRecEPNS_3SopEiP7VecsMemIjLi8192EEPN8subgUtil4SubgILi256EEE, 108

	.type	.str.34,@object                 ; @.str.34
.str.34:
	.asciz	"cQuo->nCubes > 0"
	.size	.str.34, 17

	.type	.str.35,@object                 ; @.str.35
.str.35:
	.asciz	"cResult->nCubes > 0"
	.size	.str.35, 20

	.type	__PRETTY_FUNCTION__._ZN3sop10sopDivisorEPNS_3SopES1_iP7VecsMemIjLi8192EE,@object ; @__PRETTY_FUNCTION__._ZN3sop10sopDivisorEPNS_3SopES1_iP7VecsMemIjLi8192EE
__PRETTY_FUNCTION__._ZN3sop10sopDivisorEPNS_3SopES1_iP7VecsMemIjLi8192EE:
	.asciz	"int sop::sopDivisor(Sop *, Sop *, int, VecsMem<unsigned int, ISOP_FACTOR_MEM_CAP> *)"
	.size	__PRETTY_FUNCTION__._ZN3sop10sopDivisorEPNS_3SopES1_iP7VecsMemIjLi8192EE, 85

	.type	.str.36,@object                 ; @.str.36
.str.36:
	.asciz	"uCube"
	.size	.str.36, 6

	.type	__PRETTY_FUNCTION__._ZN3sop23sopFactorTrivialCubeRecEjiiPN8subgUtil4SubgILi256EEE,@object ; @__PRETTY_FUNCTION__._ZN3sop23sopFactorTrivialCubeRecEjiiPN8subgUtil4SubgILi256EEE
__PRETTY_FUNCTION__._ZN3sop23sopFactorTrivialCubeRecEjiiPN8subgUtil4SubgILi256EEE:
	.asciz	"int sop::sopFactorTrivialCubeRec(unsigned int, int, int, subgUtil::Subg<SUBG_CAP> *)"
	.size	__PRETTY_FUNCTION__._ZN3sop23sopFactorTrivialCubeRecEjiiPN8subgUtil4SubgILi256EEE, 85

	.type	.str.37,@object                 ; @.str.37
.str.37:
	.asciz	"iLit != -1"
	.size	.str.37, 11

	.type	.str.38,@object                 ; @.str.38
.str.38:
	.asciz	"cSop->nCubes >= cDiv->nCubes"
	.size	.str.38, 29

	.type	__PRETTY_FUNCTION__._ZN3sop17sopDivideInternalEPNS_3SopES1_S1_S1_P7VecsMemIjLi8192EE,@object ; @__PRETTY_FUNCTION__._ZN3sop17sopDivideInternalEPNS_3SopES1_S1_S1_P7VecsMemIjLi8192EE
__PRETTY_FUNCTION__._ZN3sop17sopDivideInternalEPNS_3SopES1_S1_S1_P7VecsMemIjLi8192EE:
	.asciz	"void sop::sopDivideInternal(Sop *, Sop *, Sop *, Sop *, VecsMem<unsigned int, ISOP_FACTOR_MEM_CAP> *)"
	.size	__PRETTY_FUNCTION__._ZN3sop17sopDivideInternalEPNS_3SopES1_S1_S1_P7VecsMemIjLi8192EE, 102

	.type	.str.39,@object                 ; @.str.39
.str.39:
	.asciz	"i2 < cSop->nCubes"
	.size	.str.39, 18

	.type	.str.40,@object                 ; @.str.40
.str.40:
	.asciz	"nCubesRem == vRem->nCubes"
	.size	.str.40, 26

	.type	.str.43,@object                 ; @.str.43
.str.43:
	.asciz	"nSize < nCap"
	.size	.str.43, 13

	.type	.str.44,@object                 ; @.str.44
.str.44:
	.asciz	"/root/src/amdgpu-assembly/repos/zjin-lcf__HeCBench/src/logic-rewrite-hip/sop.cuh"
	.size	.str.44, 81

	.type	__PRETTY_FUNCTION__._ZN8subgUtil4SubgILi256EE10addNodeAndEii,@object ; @__PRETTY_FUNCTION__._ZN8subgUtil4SubgILi256EE10addNodeAndEii
__PRETTY_FUNCTION__._ZN8subgUtil4SubgILi256EE10addNodeAndEii:
	.asciz	"int subgUtil::Subg<256>::addNodeAnd(int, int) [nCap = 256]"
	.size	__PRETTY_FUNCTION__._ZN8subgUtil4SubgILi256EE10addNodeAndEii, 59

	.type	__PRETTY_FUNCTION__._ZN8subgUtil4SubgILi256EE9addNodeOrEii,@object ; @__PRETTY_FUNCTION__._ZN8subgUtil4SubgILi256EE9addNodeOrEii
__PRETTY_FUNCTION__._ZN8subgUtil4SubgILi256EE9addNodeOrEii:
	.asciz	"int subgUtil::Subg<256>::addNodeOr(int, int) [nCap = 256]"
	.size	__PRETTY_FUNCTION__._ZN8subgUtil4SubgILi256EE9addNodeOrEii, 58

	.type	.str.45,@object                 ; @.str.45
.str.45:
	.asciz	"%d %d\n"
	.size	.str.45, 7

	.type	__PRETTY_FUNCTION__._ZN3sop18sopCommonCubeCoverEPNS_3SopES1_P7VecsMemIjLi8192EE,@object ; @__PRETTY_FUNCTION__._ZN3sop18sopCommonCubeCoverEPNS_3SopES1_P7VecsMemIjLi8192EE
__PRETTY_FUNCTION__._ZN3sop18sopCommonCubeCoverEPNS_3SopES1_P7VecsMemIjLi8192EE:
	.asciz	"void sop::sopCommonCubeCover(Sop *, Sop *, VecsMem<unsigned int, ISOP_FACTOR_MEM_CAP> *)"
	.size	__PRETTY_FUNCTION__._ZN3sop18sopCommonCubeCoverEPNS_3SopES1_P7VecsMemIjLi8192EE, 89

	.type	.str.46,@object                 ; @.str.46
.str.46:
	.asciz	"lit1 >= 0 && lit2 >= 0 && (fComp == 0 || fComp == 1) && lit1 <= lit2"
	.size	.str.46, 69

	.type	__PRETTY_FUNCTION__._ZN8subgUtil18formAndNodeKeyFlagEiii,@object ; @__PRETTY_FUNCTION__._ZN8subgUtil18formAndNodeKeyFlagEiii
__PRETTY_FUNCTION__._ZN8subgUtil18formAndNodeKeyFlagEiii:
	.asciz	"uint64 subgUtil::formAndNodeKeyFlag(const int, const int, const int)"
	.size	__PRETTY_FUNCTION__._ZN8subgUtil18formAndNodeKeyFlagEiii, 69

	.type	__hip_cuid_c844c138910b69a0,@object ; @__hip_cuid_c844c138910b69a0
	.section	.bss,"aw",@nobits
	.globl	__hip_cuid_c844c138910b69a0
__hip_cuid_c844c138910b69a0:
	.byte	0                               ; 0x0
	.size	__hip_cuid_c844c138910b69a0, 1

	.ident	"AMD clang version 19.0.0git (https://github.com/RadeonOpenCompute/llvm-project roc-6.4.0 25133 c7fe45cf4b819c5991fe208aaa96edf142730f1d)"
	.section	".note.GNU-stack","",@progbits
	.addrsig
	.addrsig_sym __hip_cuid_c844c138910b69a0
	.amdgpu_metadata
---
amdhsa.kernels:
  - .agpr_count:     40
    .args:
      - .address_space:  global
        .offset:         0
        .size:           8
        .value_kind:     global_buffer
      - .address_space:  global
        .offset:         8
        .size:           8
        .value_kind:     global_buffer
      - .address_space:  global
        .offset:         16
        .size:           8
        .value_kind:     global_buffer
      - .address_space:  global
        .offset:         24
        .size:           8
        .value_kind:     global_buffer
      - .address_space:  global
        .offset:         32
        .size:           8
        .value_kind:     global_buffer
      - .address_space:  global
        .offset:         40
        .size:           8
        .value_kind:     global_buffer
      - .offset:         48
        .size:           4
        .value_kind:     by_value
      - .address_space:  global
        .offset:         56
        .size:           8
        .value_kind:     global_buffer
      - .address_space:  global
        .offset:         64
        .size:           8
        .value_kind:     global_buffer
      - .address_space:  global
        .offset:         72
        .size:           8
        .value_kind:     global_buffer
      - .address_space:  global
        .offset:         80
        .size:           8
        .value_kind:     global_buffer
      - .address_space:  global
        .offset:         88
        .size:           8
        .value_kind:     global_buffer
      - .address_space:  global
        .offset:         96
        .size:           8
        .value_kind:     global_buffer
      - .address_space:  global
        .offset:         104
        .size:           8
        .value_kind:     global_buffer
      - .address_space:  global
        .offset:         112
        .size:           8
        .value_kind:     global_buffer
      - .offset:         120
        .size:           4
        .value_kind:     by_value
      - .offset:         124
        .size:           4
        .value_kind:     by_value
      - .offset:         128
        .size:           4
        .value_kind:     hidden_block_count_x
      - .offset:         132
        .size:           4
        .value_kind:     hidden_block_count_y
      - .offset:         136
        .size:           4
        .value_kind:     hidden_block_count_z
      - .offset:         140
        .size:           2
        .value_kind:     hidden_group_size_x
      - .offset:         142
        .size:           2
        .value_kind:     hidden_group_size_y
      - .offset:         144
        .size:           2
        .value_kind:     hidden_group_size_z
      - .offset:         146
        .size:           2
        .value_kind:     hidden_remainder_x
      - .offset:         148
        .size:           2
        .value_kind:     hidden_remainder_y
      - .offset:         150
        .size:           2
        .value_kind:     hidden_remainder_z
      - .offset:         168
        .size:           8
        .value_kind:     hidden_global_offset_x
      - .offset:         176
        .size:           8
        .value_kind:     hidden_global_offset_y
      - .offset:         184
        .size:           8
        .value_kind:     hidden_global_offset_z
      - .offset:         192
        .size:           2
        .value_kind:     hidden_grid_dims
      - .offset:         208
        .size:           8
        .value_kind:     hidden_hostcall_buffer
    .group_segment_fixed_size: 32768
    .kernarg_segment_align: 8
    .kernarg_segment_size: 384
    .language:       OpenCL C
    .language_version:
      - 2
      - 0
    .max_flat_workgroup_size: 1024
    .name:           _Z8resynCutPKiS0_S0_S0_PKyPKjiS0_PyPiS6_S6_PjS0_S4_ii
    .private_segment_fixed_size: 41392
    .sgpr_count:     106
    .sgpr_spill_count: 1213
    .symbol:         _Z8resynCutPKiS0_S0_S0_PKyPKjiS0_PyPiS6_S6_PjS0_S4_ii.kd
    .uniform_work_group_size: 1
    .uses_dynamic_stack: true
    .vgpr_count:     168
    .vgpr_spill_count: 1
    .wavefront_size: 64
  - .agpr_count:     40
    .args:
      - .address_space:  global
        .offset:         0
        .size:           8
        .value_kind:     global_buffer
      - .address_space:  global
        .offset:         8
        .size:           8
        .value_kind:     global_buffer
      - .address_space:  global
        .offset:         16
        .size:           8
        .value_kind:     global_buffer
      - .address_space:  global
        .offset:         24
        .size:           8
        .value_kind:     global_buffer
      - .address_space:  global
        .offset:         32
        .size:           8
        .value_kind:     global_buffer
      - .address_space:  global
        .offset:         40
        .size:           8
        .value_kind:     global_buffer
      - .address_space:  global
        .offset:         48
        .size:           8
        .value_kind:     global_buffer
      - .address_space:  global
        .offset:         56
        .size:           8
        .value_kind:     global_buffer
      - .address_space:  global
        .offset:         64
        .size:           8
        .value_kind:     global_buffer
      - .address_space:  global
        .offset:         72
        .size:           8
        .value_kind:     global_buffer
      - .offset:         80
        .size:           4
        .value_kind:     by_value
      - .offset:         88
        .size:           4
        .value_kind:     hidden_block_count_x
      - .offset:         92
        .size:           4
        .value_kind:     hidden_block_count_y
      - .offset:         96
        .size:           4
        .value_kind:     hidden_block_count_z
      - .offset:         100
        .size:           2
        .value_kind:     hidden_group_size_x
      - .offset:         102
        .size:           2
        .value_kind:     hidden_group_size_y
      - .offset:         104
        .size:           2
        .value_kind:     hidden_group_size_z
      - .offset:         106
        .size:           2
        .value_kind:     hidden_remainder_x
      - .offset:         108
        .size:           2
        .value_kind:     hidden_remainder_y
      - .offset:         110
        .size:           2
        .value_kind:     hidden_remainder_z
      - .offset:         128
        .size:           8
        .value_kind:     hidden_global_offset_x
      - .offset:         136
        .size:           8
        .value_kind:     hidden_global_offset_y
      - .offset:         144
        .size:           8
        .value_kind:     hidden_global_offset_z
      - .offset:         152
        .size:           2
        .value_kind:     hidden_grid_dims
      - .offset:         168
        .size:           8
        .value_kind:     hidden_hostcall_buffer
    .group_segment_fixed_size: 32768
    .kernarg_segment_align: 8
    .kernarg_segment_size: 344
    .language:       OpenCL C
    .language_version:
      - 2
      - 0
    .max_flat_workgroup_size: 1024
    .name:           _Z15factorFromTruthPKiS0_PyPiS2_S2_PKjS4_S0_S4_i
    .private_segment_fixed_size: 35200
    .sgpr_count:     106
    .sgpr_spill_count: 53
    .symbol:         _Z15factorFromTruthPKiS0_PyPiS2_S2_PKjS4_S0_S4_i.kd
    .uniform_work_group_size: 1
    .uses_dynamic_stack: true
    .vgpr_count:     120
    .vgpr_spill_count: 0
    .wavefront_size: 64
amdhsa.target:   amdgcn-amd-amdhsa--gfx90a
amdhsa.version:
  - 1
  - 2
...

	.end_amdgpu_metadata
